;; amdgpu-corpus repo=ROCm/rocFFT kind=compiled arch=gfx906 opt=O3
	.text
	.amdgcn_target "amdgcn-amd-amdhsa--gfx906"
	.amdhsa_code_object_version 6
	.protected	bluestein_single_fwd_len3240_dim1_sp_op_CI_CI ; -- Begin function bluestein_single_fwd_len3240_dim1_sp_op_CI_CI
	.globl	bluestein_single_fwd_len3240_dim1_sp_op_CI_CI
	.p2align	8
	.type	bluestein_single_fwd_len3240_dim1_sp_op_CI_CI,@function
bluestein_single_fwd_len3240_dim1_sp_op_CI_CI: ; @bluestein_single_fwd_len3240_dim1_sp_op_CI_CI
; %bb.0:
	s_load_dwordx4 s[12:15], s[4:5], 0x28
	s_mov_b64 s[26:27], s[2:3]
	v_mul_u32_u24_e32 v3, 0x25f, v0
	s_mov_b64 s[24:25], s[0:1]
	v_add_u32_sdwa v1, s6, v3 dst_sel:DWORD dst_unused:UNUSED_PAD src0_sel:DWORD src1_sel:WORD_1
	v_mov_b32_e32 v2, 0
	s_add_u32 s24, s24, s7
	s_waitcnt lgkmcnt(0)
	v_cmp_gt_u64_e32 vcc, s[12:13], v[1:2]
	s_addc_u32 s25, s25, 0
	s_and_saveexec_b64 s[0:1], vcc
	s_cbranch_execz .LBB0_2
; %bb.1:
	s_load_dwordx4 s[8:11], s[4:5], 0x0
	s_load_dwordx4 s[16:19], s[4:5], 0x18
	s_load_dwordx2 s[12:13], s[4:5], 0x38
	s_movk_i32 s20, 0x6c
	v_mul_lo_u16_sdwa v2, v3, s20 dst_sel:DWORD dst_unused:UNUSED_PAD src0_sel:WORD_1 src1_sel:DWORD
	v_sub_u16_e32 v33, v0, v2
	s_waitcnt lgkmcnt(0)
	s_load_dwordx4 s[0:3], s[18:19], 0x0
	v_lshlrev_b32_e32 v200, 3, v33
                                        ; kill: killed $sgpr8_sgpr9
	v_add_u32_e32 v32, 0x2c00, v200
	v_mov_b32_e32 v79, v32
	v_add_u32_e32 v24, 0x4800, v200
	s_waitcnt lgkmcnt(0)
	v_mad_u64_u32 v[4:5], s[4:5], s2, v1, 0
	v_mov_b32_e32 v88, v24
	v_mov_b32_e32 v158, v79
	;; [unrolled: 1-line block ×3, first 2 shown]
	v_mad_u64_u32 v[2:3], s[2:3], s3, v1, v[0:1]
	v_mov_b32_e32 v162, v88
	v_mov_b32_e32 v5, v2
	buffer_store_dword v4, off, s[24:27], 0 offset:160 ; 4-byte Folded Spill
	s_nop 0
	buffer_store_dword v5, off, s[24:27], 0 offset:164 ; 4-byte Folded Spill
	s_load_dwordx4 s[4:7], s[16:17], 0x0
	s_waitcnt lgkmcnt(0)
	v_mad_u64_u32 v[2:3], s[2:3], s6, v1, 0
	s_mul_hi_u32 s6, s4, 0xffffbfe0
	s_sub_i32 s16, s6, s4
	v_mov_b32_e32 v0, v3
	v_mad_u64_u32 v[0:1], s[2:3], s7, v1, v[0:1]
	s_mul_i32 s17, s4, 0xffffbfe0
	s_movk_i32 s7, 0x21c
	v_mov_b32_e32 v3, v0
	v_mad_u64_u32 v[0:1], s[2:3], s4, v33, 0
	s_movk_i32 s6, 0x1000
	v_mad_u64_u32 v[4:5], s[2:3], s5, v33, v[1:2]
	global_load_dwordx2 v[5:6], v200, s[8:9]
	v_lshlrev_b64 v[2:3], 3, v[2:3]
	v_mov_b32_e32 v1, v4
	v_add_co_u32_e32 v2, vcc, s14, v2
	v_mov_b32_e32 v4, s15
	v_lshlrev_b64 v[0:1], 3, v[0:1]
	v_addc_co_u32_e32 v3, vcc, v4, v3, vcc
	v_add_co_u32_e32 v0, vcc, v2, v0
	v_addc_co_u32_e32 v1, vcc, v3, v1, vcc
	global_load_dwordx2 v[2:3], v[0:1], off
	v_add_co_u32_e32 v202, vcc, s8, v200
	v_mov_b32_e32 v4, s9
	v_addc_co_u32_e32 v201, vcc, 0, v4, vcc
	s_mul_i32 s2, s5, 0x21c0
	s_mul_hi_u32 s14, s4, 0x21c0
	s_add_i32 s14, s14, s2
	s_mul_i32 s15, s4, 0x21c0
	v_add_co_u32_e32 v0, vcc, s15, v0
	s_movk_i32 s3, 0x2000
	s_movk_i32 s2, 0x4000
	s_mulk_i32 s5, 0xbfe0
	s_add_i32 s16, s16, s5
	s_movk_i32 s4, 0xd8
	s_movk_i32 s5, 0x3000
	s_waitcnt vmcnt(1)
	buffer_store_dword v5, off, s[24:27], 0 offset:232 ; 4-byte Folded Spill
	s_nop 0
	buffer_store_dword v6, off, s[24:27], 0 offset:236 ; 4-byte Folded Spill
	s_waitcnt vmcnt(2)
	v_mul_f32_e32 v4, v3, v6
	v_fmac_f32_e32 v4, v2, v5
	v_mul_f32_e32 v2, v2, v6
	v_fma_f32 v5, v3, v5, -v2
	v_mov_b32_e32 v2, s14
	v_addc_co_u32_e32 v1, vcc, v1, v2, vcc
	v_add_co_u32_e32 v6, vcc, s3, v202
	v_addc_co_u32_e32 v7, vcc, 0, v201, vcc
	global_load_dwordx2 v[9:10], v[6:7], off offset:448
	global_load_dwordx2 v[2:3], v[0:1], off
                                        ; kill: killed $vgpr6 killed $vgpr7
	s_waitcnt vmcnt(1)
	buffer_store_dword v9, off, s[24:27], 0 offset:224 ; 4-byte Folded Spill
	s_nop 0
	buffer_store_dword v10, off, s[24:27], 0 offset:228 ; 4-byte Folded Spill
	s_waitcnt vmcnt(2)
	v_mul_f32_e32 v8, v3, v10
	v_fmac_f32_e32 v8, v2, v9
	v_mul_f32_e32 v2, v2, v10
	v_fma_f32 v9, v3, v9, -v2
	v_add_co_u32_e32 v2, vcc, s15, v0
	v_mov_b32_e32 v0, s14
	v_addc_co_u32_e32 v3, vcc, v1, v0, vcc
	v_add_co_u32_e32 v0, vcc, s2, v202
	v_addc_co_u32_e32 v1, vcc, 0, v201, vcc
	global_load_dwordx2 v[11:12], v[0:1], off offset:896
	ds_write_b64 v200, v[8:9] offset:8640
	global_load_dwordx2 v[8:9], v[2:3], off
	v_add_co_u32_e32 v29, vcc, s20, v33
	v_add_co_u32_e32 v2, vcc, s17, v2
                                        ; kill: killed $vgpr0 killed $vgpr1
	s_waitcnt vmcnt(1)
	buffer_store_dword v11, off, s[24:27], 0 offset:208 ; 4-byte Folded Spill
	s_nop 0
	buffer_store_dword v12, off, s[24:27], 0 offset:212 ; 4-byte Folded Spill
	s_waitcnt vmcnt(2)
	v_mul_f32_e32 v10, v9, v12
	v_fmac_f32_e32 v10, v8, v11
	v_mul_f32_e32 v8, v8, v12
	v_fma_f32 v11, v9, v11, -v8
	v_mov_b32_e32 v8, s16
	ds_write_b64 v200, v[10:11] offset:17280
	v_addc_co_u32_e32 v3, vcc, v3, v8, vcc
	global_load_dwordx2 v[8:9], v[2:3], off
	global_load_dwordx2 v[11:12], v200, s[8:9] offset:864
	v_add_co_u32_e32 v2, vcc, s15, v2
	s_waitcnt vmcnt(0)
	buffer_store_dword v11, off, s[24:27], 0 offset:216 ; 4-byte Folded Spill
	s_nop 0
	buffer_store_dword v12, off, s[24:27], 0 offset:220 ; 4-byte Folded Spill
	v_mul_f32_e32 v10, v9, v12
	v_fmac_f32_e32 v10, v8, v11
	v_mul_f32_e32 v8, v8, v12
	v_fma_f32 v11, v9, v11, -v8
	ds_write2_b64 v200, v[4:5], v[10:11] offset1:108
	v_mov_b32_e32 v4, s14
	v_addc_co_u32_e32 v3, vcc, v3, v4, vcc
	global_load_dwordx2 v[4:5], v[2:3], off
	global_load_dwordx2 v[9:10], v[6:7], off offset:1312
	v_add_co_u32_e32 v2, vcc, s15, v2
	s_waitcnt vmcnt(0)
	buffer_store_dword v9, off, s[24:27], 0 offset:192 ; 4-byte Folded Spill
	s_nop 0
	buffer_store_dword v10, off, s[24:27], 0 offset:196 ; 4-byte Folded Spill
	v_mul_f32_e32 v8, v5, v10
	v_fmac_f32_e32 v8, v4, v9
	v_mul_f32_e32 v4, v4, v10
	v_fma_f32 v9, v5, v9, -v4
	v_mov_b32_e32 v4, s14
	v_addc_co_u32_e32 v3, vcc, v3, v4, vcc
	global_load_dwordx2 v[4:5], v[2:3], off
	global_load_dwordx2 v[11:12], v[0:1], off offset:1760
	v_add_co_u32_e32 v28, vcc, s4, v33
	v_add_co_u32_e32 v2, vcc, s17, v2
	s_movk_i32 s4, 0x144
	s_waitcnt vmcnt(0)
	buffer_store_dword v11, off, s[24:27], 0 offset:152 ; 4-byte Folded Spill
	s_nop 0
	buffer_store_dword v12, off, s[24:27], 0 offset:156 ; 4-byte Folded Spill
	v_mul_f32_e32 v10, v5, v12
	v_fmac_f32_e32 v10, v4, v11
	v_mul_f32_e32 v4, v4, v12
	v_fma_f32 v11, v5, v11, -v4
	v_mov_b32_e32 v4, s16
	v_addc_co_u32_e32 v3, vcc, v3, v4, vcc
	global_load_dwordx2 v[4:5], v[2:3], off
	global_load_dwordx2 v[13:14], v200, s[8:9] offset:1728
	v_add_co_u32_e32 v2, vcc, s15, v2
	s_waitcnt vmcnt(0)
	buffer_store_dword v13, off, s[24:27], 0 offset:184 ; 4-byte Folded Spill
	s_nop 0
	buffer_store_dword v14, off, s[24:27], 0 offset:188 ; 4-byte Folded Spill
	v_mul_f32_e32 v12, v5, v14
	v_fmac_f32_e32 v12, v4, v13
	v_mul_f32_e32 v4, v4, v14
	v_fma_f32 v13, v5, v13, -v4
	v_mov_b32_e32 v4, s14
	v_addc_co_u32_e32 v3, vcc, v3, v4, vcc
	global_load_dwordx2 v[4:5], v[2:3], off
	global_load_dwordx2 v[15:16], v[6:7], off offset:2176
	v_add_co_u32_e32 v2, vcc, s15, v2
	s_waitcnt vmcnt(0)
	buffer_store_dword v15, off, s[24:27], 0 offset:200 ; 4-byte Folded Spill
	s_nop 0
	buffer_store_dword v16, off, s[24:27], 0 offset:204 ; 4-byte Folded Spill
	v_mul_f32_e32 v14, v5, v16
	v_fmac_f32_e32 v14, v4, v15
	v_mul_f32_e32 v4, v4, v16
	v_fma_f32 v15, v5, v15, -v4
	v_add_u32_e32 v4, 0x2400, v200
	ds_write2_b64 v4, v[8:9], v[14:15] offset0:36 offset1:144
	v_mov_b32_e32 v4, s14
	v_addc_co_u32_e32 v3, vcc, v3, v4, vcc
	global_load_dwordx2 v[4:5], v[2:3], off
	global_load_dwordx2 v[14:15], v[0:1], off offset:2624
	v_add_co_u32_e32 v30, vcc, s4, v33
	v_add_co_u32_e32 v2, vcc, s17, v2
	s_movk_i32 s4, 0x1b0
	s_waitcnt vmcnt(0)
	buffer_store_dword v14, off, s[24:27], 0 offset:144 ; 4-byte Folded Spill
	s_nop 0
	buffer_store_dword v15, off, s[24:27], 0 offset:148 ; 4-byte Folded Spill
	v_mul_f32_e32 v8, v5, v15
	v_fmac_f32_e32 v8, v4, v14
	v_mul_f32_e32 v4, v4, v15
	v_fma_f32 v9, v5, v14, -v4
	v_add_u32_e32 v4, 0x4400, v200
	ds_write2_b64 v4, v[10:11], v[8:9] offset0:92 offset1:200
	v_mov_b32_e32 v4, s16
	v_addc_co_u32_e32 v3, vcc, v3, v4, vcc
	global_load_dwordx2 v[4:5], v[2:3], off
	global_load_dwordx2 v[9:10], v200, s[8:9] offset:2592
	v_add_co_u32_e32 v2, vcc, s15, v2
	s_waitcnt vmcnt(0)
	buffer_store_dword v9, off, s[24:27], 0 offset:176 ; 4-byte Folded Spill
	s_nop 0
	buffer_store_dword v10, off, s[24:27], 0 offset:180 ; 4-byte Folded Spill
	v_mul_f32_e32 v8, v5, v10
	v_fmac_f32_e32 v8, v4, v9
	v_mul_f32_e32 v4, v4, v10
	v_fma_f32 v9, v5, v9, -v4
	v_add_u32_e32 v4, 0x400, v200
	ds_write2_b64 v4, v[12:13], v[8:9] offset0:88 offset1:196
	v_mov_b32_e32 v21, v4
	v_mov_b32_e32 v4, s14
	v_addc_co_u32_e32 v3, vcc, v3, v4, vcc
	global_load_dwordx2 v[4:5], v[2:3], off
	global_load_dwordx2 v[9:10], v[6:7], off offset:3040
	v_add_co_u32_e32 v2, vcc, s15, v2
	v_mov_b32_e32 v84, v21
	v_mov_b32_e32 v164, v84
	;; [unrolled: 1-line block ×3, first 2 shown]
	s_waitcnt vmcnt(0)
	buffer_store_dword v9, off, s[24:27], 0 offset:168 ; 4-byte Folded Spill
	s_nop 0
	buffer_store_dword v10, off, s[24:27], 0 offset:172 ; 4-byte Folded Spill
	v_mul_f32_e32 v8, v5, v10
	v_fmac_f32_e32 v8, v4, v9
	v_mul_f32_e32 v4, v4, v10
	v_fma_f32 v9, v5, v9, -v4
	v_mov_b32_e32 v4, s14
	v_addc_co_u32_e32 v3, vcc, v3, v4, vcc
	global_load_dwordx2 v[4:5], v[2:3], off
	global_load_dwordx2 v[11:12], v[0:1], off offset:3488
	v_add_co_u32_e32 v31, vcc, s4, v33
	v_add_co_u32_e32 v2, vcc, s17, v2
	s_movk_i32 s4, 0x5000
	s_waitcnt vmcnt(0)
	buffer_store_dword v11, off, s[24:27], 0 offset:136 ; 4-byte Folded Spill
	s_nop 0
	buffer_store_dword v12, off, s[24:27], 0 offset:140 ; 4-byte Folded Spill
	v_mul_f32_e32 v10, v5, v12
	v_fmac_f32_e32 v10, v4, v11
	v_mul_f32_e32 v4, v4, v12
	v_fma_f32 v11, v5, v11, -v4
	v_mov_b32_e32 v4, s16
	v_addc_co_u32_e32 v3, vcc, v3, v4, vcc
	global_load_dwordx2 v[4:5], v[2:3], off
	global_load_dwordx2 v[13:14], v200, s[8:9] offset:3456
	v_add_co_u32_e32 v2, vcc, s15, v2
	s_movk_i32 s8, 0x288
	s_waitcnt vmcnt(0)
	buffer_store_dword v13, off, s[24:27], 0 offset:128 ; 4-byte Folded Spill
	s_nop 0
	buffer_store_dword v14, off, s[24:27], 0 offset:132 ; 4-byte Folded Spill
	v_mul_f32_e32 v12, v5, v14
	v_fmac_f32_e32 v12, v4, v13
	v_mul_f32_e32 v4, v4, v14
	v_fma_f32 v13, v5, v13, -v4
	v_mov_b32_e32 v4, s14
	v_addc_co_u32_e32 v3, vcc, v3, v4, vcc
	global_load_dwordx2 v[4:5], v[2:3], off
	global_load_dwordx2 v[14:15], v[6:7], off offset:3904
	v_add_co_u32_e32 v2, vcc, s15, v2
	s_waitcnt vmcnt(0)
	buffer_store_dword v14, off, s[24:27], 0 offset:112 ; 4-byte Folded Spill
	s_nop 0
	buffer_store_dword v15, off, s[24:27], 0 offset:116 ; 4-byte Folded Spill
	v_mul_f32_e32 v6, v5, v15
	v_fmac_f32_e32 v6, v4, v14
	v_mul_f32_e32 v4, v4, v15
	v_fma_f32 v7, v5, v14, -v4
	v_add_u32_e32 v4, 0x2800, v200
	ds_write2_b64 v4, v[8:9], v[6:7] offset0:124 offset1:232
	v_mov_b32_e32 v22, v4
	v_mov_b32_e32 v4, s14
	v_addc_co_u32_e32 v3, vcc, v3, v4, vcc
	v_add_co_u32_e32 v6, vcc, s4, v202
	v_addc_co_u32_e32 v7, vcc, 0, v201, vcc
	global_load_dwordx2 v[14:15], v[6:7], off offset:256
	global_load_dwordx2 v[4:5], v[2:3], off
	v_add_co_u32_e32 v36, vcc, s7, v33
	v_add_co_u32_e32 v2, vcc, s17, v2
                                        ; kill: killed $vgpr6 killed $vgpr7
	v_mov_b32_e32 v85, v22
	v_mov_b32_e32 v163, v85
	s_waitcnt vmcnt(1)
	buffer_store_dword v14, off, s[24:27], 0 offset:96 ; 4-byte Folded Spill
	s_nop 0
	buffer_store_dword v15, off, s[24:27], 0 offset:100 ; 4-byte Folded Spill
	s_waitcnt vmcnt(2)
	v_mul_f32_e32 v8, v5, v15
	v_fmac_f32_e32 v8, v4, v14
	v_mul_f32_e32 v4, v4, v15
	v_fma_f32 v9, v5, v14, -v4
	v_add_u32_e32 v4, 0x4c00, v200
	ds_write2_b64 v4, v[10:11], v[8:9] offset0:52 offset1:160
	v_mov_b32_e32 v4, s16
	v_addc_co_u32_e32 v3, vcc, v3, v4, vcc
	v_add_co_u32_e32 v8, vcc, s6, v202
	v_addc_co_u32_e32 v9, vcc, 0, v201, vcc
	global_load_dwordx2 v[14:15], v[8:9], off offset:224
	global_load_dwordx2 v[4:5], v[2:3], off
	v_add_co_u32_e32 v2, vcc, s15, v2
                                        ; kill: killed $vgpr8 killed $vgpr9
	s_waitcnt vmcnt(1)
	buffer_store_dword v14, off, s[24:27], 0 offset:120 ; 4-byte Folded Spill
	s_nop 0
	buffer_store_dword v15, off, s[24:27], 0 offset:124 ; 4-byte Folded Spill
	s_waitcnt vmcnt(2)
	v_mul_f32_e32 v10, v5, v15
	v_fmac_f32_e32 v10, v4, v14
	v_mul_f32_e32 v4, v4, v15
	v_fma_f32 v11, v5, v14, -v4
	v_add_u32_e32 v4, 0xc00, v200
	ds_write2_b64 v4, v[12:13], v[10:11] offset0:48 offset1:156
	v_mov_b32_e32 v25, v4
	v_mov_b32_e32 v4, s14
	v_addc_co_u32_e32 v3, vcc, v3, v4, vcc
	v_add_co_u32_e32 v10, vcc, s5, v202
	v_addc_co_u32_e32 v11, vcc, 0, v201, vcc
	global_load_dwordx2 v[13:14], v[10:11], off offset:672
	global_load_dwordx2 v[4:5], v[2:3], off
	v_add_co_u32_e32 v2, vcc, s15, v2
                                        ; kill: killed $vgpr10 killed $vgpr11
	v_mov_b32_e32 v81, v25
	v_mov_b32_e32 v159, v81
	s_waitcnt vmcnt(1)
	buffer_store_dword v13, off, s[24:27], 0 offset:104 ; 4-byte Folded Spill
	s_nop 0
	buffer_store_dword v14, off, s[24:27], 0 offset:108 ; 4-byte Folded Spill
	s_waitcnt vmcnt(2)
	v_mul_f32_e32 v12, v5, v14
	v_fmac_f32_e32 v12, v4, v13
	v_mul_f32_e32 v4, v4, v14
	v_fma_f32 v13, v5, v13, -v4
	v_mov_b32_e32 v4, s14
	v_addc_co_u32_e32 v3, vcc, v3, v4, vcc
	global_load_dwordx2 v[4:5], v[2:3], off
	global_load_dwordx2 v[15:16], v[6:7], off offset:1120
	v_add_co_u32_e32 v37, vcc, s8, v33
	v_add_co_u32_e32 v2, vcc, s17, v2
	s_waitcnt vmcnt(0)
	buffer_store_dword v15, off, s[24:27], 0 offset:88 ; 4-byte Folded Spill
	s_nop 0
	buffer_store_dword v16, off, s[24:27], 0 offset:92 ; 4-byte Folded Spill
	s_movk_i32 s8, 0x2f4
	v_mul_f32_e32 v14, v5, v16
	v_fmac_f32_e32 v14, v4, v15
	v_mul_f32_e32 v4, v4, v16
	v_fma_f32 v15, v5, v15, -v4
	v_mov_b32_e32 v4, s16
	v_addc_co_u32_e32 v3, vcc, v3, v4, vcc
	global_load_dwordx2 v[4:5], v[2:3], off
	global_load_dwordx2 v[17:18], v[8:9], off offset:1088
	v_add_co_u32_e32 v2, vcc, s15, v2
	s_waitcnt vmcnt(0)
	buffer_store_dword v17, off, s[24:27], 0 offset:80 ; 4-byte Folded Spill
	s_nop 0
	buffer_store_dword v18, off, s[24:27], 0 offset:84 ; 4-byte Folded Spill
	v_mul_f32_e32 v16, v5, v18
	v_fmac_f32_e32 v16, v4, v17
	v_mul_f32_e32 v4, v4, v18
	v_fma_f32 v17, v5, v17, -v4
	v_mov_b32_e32 v4, s14
	v_addc_co_u32_e32 v3, vcc, v3, v4, vcc
	global_load_dwordx2 v[4:5], v[2:3], off
	global_load_dwordx2 v[19:20], v[10:11], off offset:1536
	s_waitcnt vmcnt(0)
	buffer_store_dword v19, off, s[24:27], 0 offset:64 ; 4-byte Folded Spill
	s_nop 0
	buffer_store_dword v20, off, s[24:27], 0 offset:68 ; 4-byte Folded Spill
	v_add_co_u32_e32 v2, vcc, s15, v2
	v_mul_f32_e32 v18, v5, v20
	v_fmac_f32_e32 v18, v4, v19
	v_mul_f32_e32 v4, v4, v20
	v_fma_f32 v19, v5, v19, -v4
	v_add_u32_e32 v4, 0x3000, v200
	ds_write2_b64 v4, v[12:13], v[18:19] offset0:84 offset1:192
	v_mov_b32_e32 v4, s14
	v_addc_co_u32_e32 v3, vcc, v3, v4, vcc
	global_load_dwordx2 v[4:5], v[2:3], off
	global_load_dwordx2 v[18:19], v[6:7], off offset:1984
	s_waitcnt vmcnt(0)
	buffer_store_dword v18, off, s[24:27], 0 offset:56 ; 4-byte Folded Spill
	s_nop 0
	buffer_store_dword v19, off, s[24:27], 0 offset:60 ; 4-byte Folded Spill
	v_add_co_u32_e32 v38, vcc, s8, v33
	v_add_co_u32_e32 v2, vcc, s17, v2
	s_movk_i32 s8, 0x360
	v_mul_f32_e32 v12, v5, v19
	v_fmac_f32_e32 v12, v4, v18
	v_mul_f32_e32 v4, v4, v19
	v_fma_f32 v13, v5, v18, -v4
	v_add_u32_e32 v4, 0x5000, v200
	ds_write2_b64 v4, v[14:15], v[12:13] offset0:140 offset1:248
	v_mov_b32_e32 v35, v4
	v_mov_b32_e32 v4, s16
	v_addc_co_u32_e32 v3, vcc, v3, v4, vcc
	global_load_dwordx2 v[4:5], v[2:3], off
	global_load_dwordx2 v[13:14], v[8:9], off offset:1952
	s_waitcnt vmcnt(0)
	buffer_store_dword v13, off, s[24:27], 0 offset:48 ; 4-byte Folded Spill
	s_nop 0
	buffer_store_dword v14, off, s[24:27], 0 offset:52 ; 4-byte Folded Spill
	v_add_co_u32_e32 v2, vcc, s15, v2
	v_mov_b32_e32 v83, v35
	v_mov_b32_e32 v157, v83
	v_mul_f32_e32 v12, v5, v14
	v_fmac_f32_e32 v12, v4, v13
	v_mul_f32_e32 v4, v4, v14
	v_fma_f32 v13, v5, v13, -v4
	v_add_u32_e32 v4, 0x1000, v200
	ds_write2_b64 v4, v[16:17], v[12:13] offset0:136 offset1:244
	v_mov_b32_e32 v34, v4
	v_mov_b32_e32 v4, s14
	v_addc_co_u32_e32 v3, vcc, v3, v4, vcc
	global_load_dwordx2 v[4:5], v[2:3], off
	global_load_dwordx2 v[13:14], v[10:11], off offset:2400
	s_waitcnt vmcnt(0)
	buffer_store_dword v13, off, s[24:27], 0 offset:40 ; 4-byte Folded Spill
	s_nop 0
	buffer_store_dword v14, off, s[24:27], 0 offset:44 ; 4-byte Folded Spill
	v_add_co_u32_e32 v2, vcc, s15, v2
	v_mov_b32_e32 v82, v34
	v_mov_b32_e32 v167, v82
	;; [unrolled: 1-line block ×4, first 2 shown]
	v_mul_f32_e32 v12, v5, v14
	v_fmac_f32_e32 v12, v4, v13
	v_mul_f32_e32 v4, v4, v14
	v_fma_f32 v13, v5, v13, -v4
	v_mov_b32_e32 v4, s14
	v_addc_co_u32_e32 v3, vcc, v3, v4, vcc
	global_load_dwordx2 v[4:5], v[2:3], off
	global_load_dwordx2 v[15:16], v[6:7], off offset:2848
	s_waitcnt vmcnt(0)
	buffer_store_dword v15, off, s[24:27], 0 offset:32 ; 4-byte Folded Spill
	s_nop 0
	buffer_store_dword v16, off, s[24:27], 0 offset:36 ; 4-byte Folded Spill
	v_add_co_u32_e32 v39, vcc, s8, v33
	v_add_co_u32_e32 v2, vcc, s17, v2
	s_movk_i32 s8, 0x3cc
	v_mul_f32_e32 v14, v5, v16
	v_fmac_f32_e32 v14, v4, v15
	v_mul_f32_e32 v4, v4, v16
	v_fma_f32 v15, v5, v15, -v4
	v_mov_b32_e32 v4, s16
	v_addc_co_u32_e32 v3, vcc, v3, v4, vcc
	global_load_dwordx2 v[4:5], v[2:3], off
	global_load_dwordx2 v[17:18], v[8:9], off offset:2816
	s_waitcnt vmcnt(0)
	buffer_store_dword v17, off, s[24:27], 0 offset:24 ; 4-byte Folded Spill
	s_nop 0
	buffer_store_dword v18, off, s[24:27], 0 offset:28 ; 4-byte Folded Spill
	v_add_co_u32_e32 v2, vcc, s15, v2
	v_mul_f32_e32 v16, v5, v18
	v_fmac_f32_e32 v16, v4, v17
	v_mul_f32_e32 v4, v4, v18
	v_fma_f32 v17, v5, v17, -v4
	v_mov_b32_e32 v4, s14
	v_addc_co_u32_e32 v3, vcc, v3, v4, vcc
	global_load_dwordx2 v[4:5], v[2:3], off
	global_load_dwordx2 v[18:19], v[10:11], off offset:3264
	s_waitcnt vmcnt(0)
	buffer_store_dword v18, off, s[24:27], 0 offset:16 ; 4-byte Folded Spill
	s_nop 0
	buffer_store_dword v19, off, s[24:27], 0 offset:20 ; 4-byte Folded Spill
	v_add_co_u32_e32 v2, vcc, s15, v2
	v_mul_f32_e32 v10, v5, v19
	v_fmac_f32_e32 v10, v4, v18
	v_mul_f32_e32 v4, v4, v19
	v_fma_f32 v11, v5, v18, -v4
	v_add_u32_e32 v4, 0x3800, v200
	ds_write2_b64 v4, v[12:13], v[10:11] offset0:44 offset1:152
	v_mov_b32_e32 v4, s14
	v_addc_co_u32_e32 v3, vcc, v3, v4, vcc
	global_load_dwordx2 v[4:5], v[2:3], off
	global_load_dwordx2 v[10:11], v[6:7], off offset:3712
	s_waitcnt vmcnt(0)
	buffer_store_dword v10, off, s[24:27], 0 offset:8 ; 4-byte Folded Spill
	s_nop 0
	buffer_store_dword v11, off, s[24:27], 0 offset:12 ; 4-byte Folded Spill
	v_add_co_u32_e32 v40, vcc, s8, v33
	v_add_co_u32_e32 v2, vcc, s17, v2
	s_movk_i32 s8, 0x6000
	v_add_u32_e32 v12, 0x4000, v200
	v_mov_b32_e32 v86, v12
	v_mov_b32_e32 v160, v86
	v_mul_f32_e32 v6, v5, v11
	v_fmac_f32_e32 v6, v4, v10
	v_mul_f32_e32 v4, v4, v11
	v_fma_f32 v7, v5, v10, -v4
	v_add_u32_e32 v4, 0x5800, v200
	ds_write2_b64 v4, v[14:15], v[6:7] offset0:100 offset1:208
	v_mov_b32_e32 v4, s16
	v_addc_co_u32_e32 v3, vcc, v3, v4, vcc
	global_load_dwordx2 v[4:5], v[2:3], off
	global_load_dwordx2 v[10:11], v[8:9], off offset:3680
	s_waitcnt vmcnt(0)
	buffer_store_dword v10, off, s[24:27], 0 ; 4-byte Folded Spill
	s_nop 0
	buffer_store_dword v11, off, s[24:27], 0 offset:4 ; 4-byte Folded Spill
	v_add_co_u32_e32 v2, vcc, s15, v2
	v_add_u32_e32 v8, 0x2000, v200
	v_mov_b32_e32 v80, v8
	v_mov_b32_e32 v155, v80
	v_mul_f32_e32 v6, v5, v11
	v_fmac_f32_e32 v6, v4, v10
	v_mul_f32_e32 v4, v4, v11
	v_fma_f32 v7, v5, v10, -v4
	v_add_u32_e32 v4, 0x1800, v200
	ds_write2_b64 v4, v[16:17], v[6:7] offset0:96 offset1:204
	v_mov_b32_e32 v61, v4
	v_mov_b32_e32 v4, s14
	v_addc_co_u32_e32 v3, vcc, v3, v4, vcc
	global_load_dwordx2 v[4:5], v[2:3], off
	global_load_dwordx2 v[6:7], v[0:1], off offset:32
	s_waitcnt vmcnt(0)
	buffer_store_dword v6, off, s[24:27], 0 offset:72 ; 4-byte Folded Spill
	s_nop 0
	buffer_store_dword v7, off, s[24:27], 0 offset:76 ; 4-byte Folded Spill
	v_mov_b32_e32 v87, v61
	v_mov_b32_e32 v161, v87
	v_mul_f32_e32 v0, v5, v7
	v_mul_f32_e32 v1, v4, v7
	v_fmac_f32_e32 v0, v4, v6
	v_fma_f32 v1, v5, v6, -v1
	ds_write_b64 v200, v[0:1] offset:16416
	v_add_co_u32_e32 v0, vcc, s15, v2
	v_mov_b32_e32 v1, s14
	v_addc_co_u32_e32 v1, vcc, v3, v1, vcc
	v_add_co_u32_e32 v2, vcc, s8, v202
	v_addc_co_u32_e32 v3, vcc, 0, v201, vcc
	global_load_dwordx2 v[0:1], v[0:1], off
	s_nop 0
	buffer_store_dword v2, off, s[24:27], 0 offset:452 ; 4-byte Folded Spill
	s_nop 0
	buffer_store_dword v3, off, s[24:27], 0 offset:456 ; 4-byte Folded Spill
	s_movk_i32 s8, 0xab
	s_movk_i32 s14, 0x48
	global_load_dwordx2 v[2:3], v[2:3], off offset:480
	s_waitcnt vmcnt(0)
	v_mov_b32_e32 v4, v3
	v_mov_b32_e32 v3, v2
	v_mul_f32_e32 v2, v1, v4
	v_fmac_f32_e32 v2, v0, v3
	v_mul_f32_e32 v0, v0, v4
	buffer_store_dword v3, off, s[24:27], 0 offset:240 ; 4-byte Folded Spill
	s_nop 0
	buffer_store_dword v4, off, s[24:27], 0 offset:244 ; 4-byte Folded Spill
	v_fma_f32 v3, v1, v3, -v0
	ds_write_b64 v200, v[2:3] offset:25056
	s_waitcnt vmcnt(0) lgkmcnt(0)
	s_barrier
	ds_read2_b64 v[0:3], v200 offset1:108
	ds_read2_b64 v[4:7], v8 offset0:56 offset1:164
	ds_read2_b64 v[8:11], v12 offset0:112 offset1:220
	;; [unrolled: 1-line block ×3, first 2 shown]
	v_add_u32_e32 v32, 0x3400, v200
	ds_read2_b64 v[53:56], v32 offset0:64 offset1:172
	v_mov_b32_e32 v78, v32
	v_add_u32_e32 v32, 0x5400, v200
	ds_read2_b64 v[57:60], v32 offset0:120 offset1:228
	v_mov_b32_e32 v77, v32
	v_add_u32_e32 v32, 0x3c00, v200
	ds_read2_b64 v[45:48], v35 offset0:32 offset1:140
	ds_read2_b64 v[65:68], v32 offset0:24 offset1:132
	v_mov_b32_e32 v35, v32
	v_add_u32_e32 v32, 0x5c00, v200
	ds_read2_b64 v[49:52], v34 offset0:136 offset1:244
	ds_read2_b64 v[69:72], v32 offset0:80 offset1:188
	v_mov_b32_e32 v34, v32
	s_waitcnt lgkmcnt(8)
	v_add_f32_e32 v32, v0, v4
	s_waitcnt lgkmcnt(7)
	v_add_f32_e32 v73, v32, v8
	v_add_f32_e32 v32, v4, v8
	v_fma_f32 v0, -0.5, v32, v0
	v_sub_f32_e32 v32, v5, v9
	v_mov_b32_e32 v75, v0
	v_fmac_f32_e32 v75, 0x3f5db3d7, v32
	v_fmac_f32_e32 v0, 0xbf5db3d7, v32
	v_add_f32_e32 v32, v1, v5
	v_add_f32_e32 v5, v5, v9
	ds_read2_b64 v[12:15], v21 offset0:88 offset1:196
	ds_read2_b64 v[16:19], v22 offset0:16 offset1:124
	;; [unrolled: 1-line block ×3, first 2 shown]
	v_fma_f32 v1, -0.5, v5, v1
	v_sub_f32_e32 v4, v4, v8
	v_mov_b32_e32 v76, v1
	v_add_f32_e32 v5, v6, v10
	v_fmac_f32_e32 v76, 0xbf5db3d7, v4
	v_fmac_f32_e32 v1, 0x3f5db3d7, v4
	v_add_f32_e32 v4, v2, v6
	v_fma_f32 v2, -0.5, v5, v2
	v_sub_f32_e32 v5, v7, v11
	v_mov_b32_e32 v8, v2
	v_fmac_f32_e32 v8, 0x3f5db3d7, v5
	v_fmac_f32_e32 v2, 0xbf5db3d7, v5
	v_add_f32_e32 v5, v3, v7
	v_add_f32_e32 v7, v7, v11
	v_fmac_f32_e32 v3, -0.5, v7
	s_waitcnt lgkmcnt(0)
	v_add_f32_e32 v7, v16, v20
	v_add_f32_e32 v74, v32, v9
	;; [unrolled: 1-line block ×4, first 2 shown]
	v_sub_f32_e32 v6, v6, v10
	v_mov_b32_e32 v9, v3
	v_fma_f32 v10, -0.5, v7, v12
	v_add_f32_e32 v11, v17, v21
	v_fmac_f32_e32 v9, 0xbf5db3d7, v6
	v_fmac_f32_e32 v3, 0x3f5db3d7, v6
	v_add_f32_e32 v6, v12, v16
	v_sub_f32_e32 v7, v17, v21
	v_mov_b32_e32 v12, v10
	v_fma_f32 v11, -0.5, v11, v13
	ds_read2_b64 v[24:27], v25 offset0:48 offset1:156
	v_fmac_f32_e32 v12, 0x3f5db3d7, v7
	v_fmac_f32_e32 v10, 0xbf5db3d7, v7
	v_add_f32_e32 v7, v13, v17
	v_sub_f32_e32 v16, v16, v20
	v_mov_b32_e32 v13, v11
	v_add_f32_e32 v17, v18, v22
	v_fmac_f32_e32 v13, 0xbf5db3d7, v16
	v_fmac_f32_e32 v11, 0x3f5db3d7, v16
	v_add_f32_e32 v16, v14, v18
	v_fma_f32 v14, -0.5, v17, v14
	v_add_f32_e32 v6, v6, v20
	v_sub_f32_e32 v17, v19, v23
	v_mov_b32_e32 v20, v14
	v_fmac_f32_e32 v20, 0x3f5db3d7, v17
	v_fmac_f32_e32 v14, 0xbf5db3d7, v17
	v_add_f32_e32 v17, v15, v19
	v_add_f32_e32 v19, v19, v23
	v_fmac_f32_e32 v15, -0.5, v19
	v_add_f32_e32 v19, v41, v45
	v_add_f32_e32 v7, v7, v21
	;; [unrolled: 1-line block ×4, first 2 shown]
	v_sub_f32_e32 v18, v18, v22
	v_mov_b32_e32 v21, v15
	s_waitcnt lgkmcnt(0)
	v_fma_f32 v22, -0.5, v19, v24
	v_add_f32_e32 v23, v42, v46
	v_fmac_f32_e32 v21, 0xbf5db3d7, v18
	v_fmac_f32_e32 v15, 0x3f5db3d7, v18
	v_add_f32_e32 v18, v24, v41
	v_sub_f32_e32 v19, v42, v46
	v_mov_b32_e32 v24, v22
	v_fma_f32 v23, -0.5, v23, v25
	v_fmac_f32_e32 v24, 0x3f5db3d7, v19
	v_fmac_f32_e32 v22, 0xbf5db3d7, v19
	v_add_f32_e32 v19, v25, v42
	v_sub_f32_e32 v32, v41, v45
	v_mov_b32_e32 v25, v23
	v_fmac_f32_e32 v25, 0xbf5db3d7, v32
	v_fmac_f32_e32 v23, 0x3f5db3d7, v32
	v_add_f32_e32 v32, v26, v43
	v_add_f32_e32 v41, v32, v47
	;; [unrolled: 1-line block ×3, first 2 shown]
	v_fma_f32 v26, -0.5, v32, v26
	v_add_f32_e32 v18, v18, v45
	v_sub_f32_e32 v32, v44, v48
	v_mov_b32_e32 v45, v26
	v_fmac_f32_e32 v45, 0x3f5db3d7, v32
	v_fmac_f32_e32 v26, 0xbf5db3d7, v32
	v_add_f32_e32 v32, v27, v44
	v_add_f32_e32 v42, v32, v48
	;; [unrolled: 1-line block ×3, first 2 shown]
	v_fmac_f32_e32 v27, -0.5, v32
	v_add_f32_e32 v19, v19, v46
	v_sub_f32_e32 v32, v43, v47
	v_mov_b32_e32 v46, v27
	v_fmac_f32_e32 v46, 0xbf5db3d7, v32
	v_fmac_f32_e32 v27, 0x3f5db3d7, v32
	v_add_f32_e32 v32, v49, v53
	v_add_f32_e32 v43, v32, v57
	v_add_f32_e32 v32, v53, v57
	v_fma_f32 v47, -0.5, v32, v49
	v_sub_f32_e32 v32, v54, v58
	v_mov_b32_e32 v49, v47
	v_fmac_f32_e32 v49, 0x3f5db3d7, v32
	v_fmac_f32_e32 v47, 0xbf5db3d7, v32
	v_add_f32_e32 v32, v50, v54
	v_add_f32_e32 v44, v32, v58
	v_add_f32_e32 v32, v54, v58
	v_fma_f32 v48, -0.5, v32, v50
	;; [unrolled: 8-line block ×3, first 2 shown]
	ds_read2_b64 v[61:64], v61 offset0:96 offset1:204
	v_sub_f32_e32 v32, v56, v60
	v_mov_b32_e32 v57, v51
	v_fmac_f32_e32 v57, 0x3f5db3d7, v32
	v_fmac_f32_e32 v51, 0xbf5db3d7, v32
	v_add_f32_e32 v32, v52, v56
	v_add_f32_e32 v54, v32, v60
	;; [unrolled: 1-line block ×3, first 2 shown]
	v_fmac_f32_e32 v52, -0.5, v32
	v_sub_f32_e32 v32, v55, v59
	v_mov_b32_e32 v58, v52
	v_fmac_f32_e32 v58, 0xbf5db3d7, v32
	v_fmac_f32_e32 v52, 0x3f5db3d7, v32
	s_waitcnt lgkmcnt(0)
	v_add_f32_e32 v32, v61, v65
	v_add_f32_e32 v55, v32, v69
	v_add_f32_e32 v32, v65, v69
	v_fma_f32 v59, -0.5, v32, v61
	v_sub_f32_e32 v32, v66, v70
	v_mov_b32_e32 v61, v59
	v_fmac_f32_e32 v61, 0x3f5db3d7, v32
	v_fmac_f32_e32 v59, 0xbf5db3d7, v32
	v_add_f32_e32 v32, v62, v66
	v_add_f32_e32 v56, v32, v70
	v_add_f32_e32 v32, v66, v70
	v_fma_f32 v60, -0.5, v32, v62
	v_sub_f32_e32 v32, v65, v69
	v_mov_b32_e32 v62, v60
	v_fmac_f32_e32 v62, 0xbf5db3d7, v32
	v_fmac_f32_e32 v60, 0x3f5db3d7, v32
	;; [unrolled: 8-line block ×3, first 2 shown]
	v_add_f32_e32 v32, v64, v68
	v_add_f32_e32 v66, v32, v72
	;; [unrolled: 1-line block ×3, first 2 shown]
	v_fmac_f32_e32 v64, -0.5, v32
	v_sub_f32_e32 v32, v67, v71
	v_mov_b32_e32 v70, v64
	v_fmac_f32_e32 v70, 0xbf5db3d7, v32
	v_fmac_f32_e32 v64, 0x3f5db3d7, v32
	v_mul_lo_u16_e32 v32, 3, v33
	v_lshlrev_b32_e32 v32, 3, v32
	s_barrier
	buffer_store_dword v32, off, s[24:27], 0 offset:384 ; 4-byte Folded Spill
	ds_write2_b64 v32, v[73:74], v[75:76] offset1:1
	ds_write_b64 v32, v[0:1] offset:16
	v_mul_u32_u24_e32 v0, 3, v29
	v_lshlrev_b32_e32 v0, 3, v0
	buffer_store_dword v0, off, s[24:27], 0 offset:380 ; 4-byte Folded Spill
	ds_write2_b64 v0, v[4:5], v[8:9] offset1:1
	ds_write_b64 v0, v[2:3] offset:16
	v_mul_u32_u24_e32 v0, 3, v28
	v_lshlrev_b32_e32 v0, 3, v0
	;; [unrolled: 5-line block ×6, first 2 shown]
	buffer_store_dword v0, off, s[24:27], 0 offset:356 ; 4-byte Folded Spill
	ds_write2_b64 v0, v[43:44], v[49:50] offset1:1
	ds_write_b64 v0, v[47:48] offset:16
	v_mul_u32_u24_e32 v0, 3, v38
	v_mul_lo_u16_sdwa v32, v33, s8 dst_sel:DWORD dst_unused:UNUSED_PAD src0_sel:BYTE_0 src1_sel:DWORD
	v_lshlrev_b32_e32 v0, 3, v0
	v_lshrrev_b16_e32 v41, 9, v32
	buffer_store_dword v0, off, s[24:27], 0 offset:352 ; 4-byte Folded Spill
	ds_write2_b64 v0, v[53:54], v[57:58] offset1:1
	ds_write_b64 v0, v[51:52] offset:16
	v_mul_u32_u24_e32 v0, 3, v39
	v_mul_lo_u16_e32 v32, 3, v41
	v_lshlrev_b32_e32 v0, 3, v0
	v_sub_u16_e32 v32, v33, v32
	buffer_store_dword v0, off, s[24:27], 0 offset:344 ; 4-byte Folded Spill
	ds_write2_b64 v0, v[55:56], v[61:62] offset1:1
	ds_write_b64 v0, v[59:60] offset:16
	v_mul_u32_u24_e32 v0, 3, v40
	v_and_b32_e32 v42, 0xff, v32
	v_lshlrev_b32_e32 v0, 3, v0
	v_lshlrev_b32_e32 v32, 4, v42
	buffer_store_dword v0, off, s[24:27], 0 offset:340 ; 4-byte Folded Spill
	ds_write2_b64 v0, v[65:66], v[69:70] offset1:1
	ds_write_b64 v0, v[63:64] offset:16
	s_waitcnt vmcnt(0) lgkmcnt(0)
	s_barrier
	ds_read2_b64 v[16:19], v200 offset1:108
	ds_read2_b64 v[43:46], v80 offset0:56 offset1:164
	ds_read2_b64 v[47:50], v86 offset0:112 offset1:220
	;; [unrolled: 1-line block ×5, first 2 shown]
	global_load_dwordx4 v[84:87], v32, s[10:11]
	ds_read2_b64 v[24:27], v35 offset0:24 offset1:132
	v_mov_b32_e32 v156, v35
	ds_read2_b64 v[20:23], v34 offset0:80 offset1:188
	v_mov_b32_e32 v35, v34
	;; [unrolled: 2-line block ×4, first 2 shown]
	ds_read2_b64 v[59:62], v79 offset0:104 offset1:212
	ds_read2_b64 v[55:58], v88 offset0:72 offset1:180
	;; [unrolled: 1-line block ×5, first 2 shown]
	s_waitcnt vmcnt(0) lgkmcnt(13)
	v_mul_f32_e32 v32, v44, v85
	v_fma_f32 v32, v43, v84, -v32
	v_mul_f32_e32 v34, v43, v85
	s_waitcnt lgkmcnt(12)
	v_mul_f32_e32 v43, v48, v87
	v_fma_f32 v75, v47, v86, -v43
	v_mul_lo_u16_sdwa v43, v29, s8 dst_sel:DWORD dst_unused:UNUSED_PAD src0_sel:BYTE_0 src1_sel:DWORD
	v_lshrrev_b16_e32 v43, 9, v43
	v_fmac_f32_e32 v34, v44, v84
	v_mul_lo_u16_e32 v44, 3, v43
	v_sub_u16_e32 v44, v29, v44
	v_and_b32_e32 v44, 0xff, v44
	v_mul_f32_e32 v76, v47, v87
	v_lshlrev_b32_e32 v47, 4, v44
	global_load_dwordx4 v[92:95], v47, s[10:11]
	s_mov_b32 s8, 0xaaab
	v_fmac_f32_e32 v76, v48, v86
	s_waitcnt vmcnt(0)
	v_mul_f32_e32 v47, v46, v93
	v_fma_f32 v77, v45, v92, -v47
	v_mul_f32_e32 v78, v45, v93
	v_mul_f32_e32 v45, v50, v95
	v_fma_f32 v79, v49, v94, -v45
	v_mul_u32_u24_sdwa v45, v28, s8 dst_sel:DWORD dst_unused:UNUSED_PAD src0_sel:WORD_0 src1_sel:DWORD
	v_lshrrev_b32_e32 v45, 17, v45
	v_fmac_f32_e32 v78, v46, v92
	v_mul_lo_u16_e32 v46, 3, v45
	v_sub_u16_e32 v46, v28, v46
	v_lshlrev_b16_e32 v47, 1, v46
	v_lshlrev_b32_e32 v47, 3, v47
	global_load_dwordx4 v[96:99], v47, s[10:11]
	v_mul_f32_e32 v80, v49, v95
	v_fmac_f32_e32 v80, v50, v94
	s_waitcnt vmcnt(0) lgkmcnt(10)
	v_mul_f32_e32 v47, v52, v97
	v_fma_f32 v81, v51, v96, -v47
	s_waitcnt lgkmcnt(3)
	v_mul_f32_e32 v47, v56, v99
	v_fma_f32 v83, v55, v98, -v47
	v_mul_u32_u24_sdwa v47, v30, s8 dst_sel:DWORD dst_unused:UNUSED_PAD src0_sel:WORD_0 src1_sel:DWORD
	v_lshrrev_b32_e32 v47, 17, v47
	v_mul_lo_u16_e32 v48, 3, v47
	v_sub_u16_e32 v48, v30, v48
	v_lshlrev_b16_e32 v49, 1, v48
	v_lshlrev_b32_e32 v49, 3, v49
	global_load_dwordx4 v[100:103], v49, s[10:11]
	v_mul_f32_e32 v82, v51, v97
	v_fmac_f32_e32 v82, v52, v96
	v_mul_f32_e32 v55, v55, v99
	v_fmac_f32_e32 v55, v56, v98
	s_waitcnt vmcnt(0)
	v_mul_f32_e32 v49, v54, v101
	v_fma_f32 v88, v53, v100, -v49
	v_mul_f32_e32 v49, v58, v103
	v_fma_f32 v90, v57, v102, -v49
	v_mul_u32_u24_sdwa v49, v31, s8 dst_sel:DWORD dst_unused:UNUSED_PAD src0_sel:WORD_0 src1_sel:DWORD
	v_lshrrev_b32_e32 v49, 17, v49
	v_mul_lo_u16_e32 v50, 3, v49
	v_sub_u16_e32 v50, v31, v50
	v_lshlrev_b16_e32 v51, 1, v50
	v_lshlrev_b32_e32 v51, 3, v51
	global_load_dwordx4 v[104:107], v51, s[10:11]
	v_mul_f32_e32 v89, v53, v101
	v_fmac_f32_e32 v89, v54, v100
	v_mul_f32_e32 v91, v57, v103
	v_fmac_f32_e32 v91, v58, v102
	s_waitcnt vmcnt(0)
	v_mul_f32_e32 v51, v60, v105
	v_fma_f32 v128, v59, v104, -v51
	s_waitcnt lgkmcnt(1)
	v_mul_f32_e32 v51, v64, v107
	v_fma_f32 v130, v63, v106, -v51
	v_mul_u32_u24_sdwa v51, v36, s8 dst_sel:DWORD dst_unused:UNUSED_PAD src0_sel:WORD_0 src1_sel:DWORD
	v_lshrrev_b32_e32 v51, 17, v51
	v_mul_lo_u16_e32 v52, 3, v51
	v_sub_u16_e32 v36, v36, v52
	v_lshlrev_b16_e32 v52, 1, v36
	v_lshlrev_b32_e32 v52, 3, v52
	global_load_dwordx4 v[108:111], v52, s[10:11]
	v_mul_f32_e32 v129, v59, v105
	v_mul_f32_e32 v63, v63, v107
	v_fmac_f32_e32 v129, v60, v104
	v_fmac_f32_e32 v63, v64, v106
	s_waitcnt vmcnt(0)
	v_mul_f32_e32 v52, v62, v109
	v_fma_f32 v131, v61, v108, -v52
	v_mul_f32_e32 v52, v66, v111
	v_fma_f32 v133, v65, v110, -v52
	v_mul_u32_u24_sdwa v52, v37, s8 dst_sel:DWORD dst_unused:UNUSED_PAD src0_sel:WORD_0 src1_sel:DWORD
	v_lshrrev_b32_e32 v52, 17, v52
	v_mul_lo_u16_e32 v53, 3, v52
	v_sub_u16_e32 v37, v37, v53
	v_lshlrev_b16_e32 v53, 1, v37
	v_lshlrev_b32_e32 v53, 3, v53
	global_load_dwordx4 v[112:115], v53, s[10:11]
	v_mul_f32_e32 v132, v61, v109
	v_fmac_f32_e32 v132, v62, v108
	v_mul_f32_e32 v134, v65, v111
	v_fmac_f32_e32 v134, v66, v110
	s_waitcnt vmcnt(0)
	v_mul_f32_e32 v53, v68, v113
	v_fma_f32 v135, v67, v112, -v53
	v_mul_f32_e32 v53, v72, v115
	v_fma_f32 v137, v71, v114, -v53
	v_mul_u32_u24_sdwa v53, v38, s8 dst_sel:DWORD dst_unused:UNUSED_PAD src0_sel:WORD_0 src1_sel:DWORD
	v_lshrrev_b32_e32 v138, 17, v53
	v_mul_lo_u16_e32 v53, 3, v138
	v_sub_u16_e32 v139, v38, v53
	v_lshlrev_b16_e32 v38, 1, v139
	v_lshlrev_b32_e32 v38, 3, v38
	global_load_dwordx4 v[116:119], v38, s[10:11]
	v_mul_f32_e32 v136, v67, v113
	v_mul_f32_e32 v71, v71, v115
	v_fmac_f32_e32 v136, v68, v112
	v_fmac_f32_e32 v71, v72, v114
	s_waitcnt vmcnt(0)
	v_mul_f32_e32 v38, v70, v117
	v_fma_f32 v140, v69, v116, -v38
	v_mul_f32_e32 v38, v74, v119
	v_fma_f32 v142, v73, v118, -v38
	v_mul_u32_u24_sdwa v38, v39, s8 dst_sel:DWORD dst_unused:UNUSED_PAD src0_sel:WORD_0 src1_sel:DWORD
	v_lshrrev_b32_e32 v144, 17, v38
	v_mul_lo_u16_e32 v38, 3, v144
	v_sub_u16_e32 v145, v39, v38
	v_lshlrev_b16_e32 v38, 1, v145
	v_lshlrev_b32_e32 v38, 3, v38
	global_load_dwordx4 v[120:123], v38, s[10:11]
	v_mul_f32_e32 v141, v69, v117
	v_fmac_f32_e32 v141, v70, v116
	v_mul_f32_e32 v143, v73, v119
	v_fmac_f32_e32 v143, v74, v118
	s_waitcnt vmcnt(0)
	v_mul_f32_e32 v38, v25, v121
	v_fma_f32 v146, v24, v120, -v38
	v_mul_f32_e32 v147, v24, v121
	v_mul_f32_e32 v24, v21, v123
	v_fma_f32 v148, v20, v122, -v24
	v_mul_f32_e32 v149, v20, v123
	v_mul_u32_u24_sdwa v20, v40, s8 dst_sel:DWORD dst_unused:UNUSED_PAD src0_sel:WORD_0 src1_sel:DWORD
	v_lshrrev_b32_e32 v150, 17, v20
	v_mul_lo_u16_e32 v20, 3, v150
	v_sub_u16_e32 v40, v40, v20
	v_lshlrev_b16_e32 v20, 1, v40
	v_lshlrev_b32_e32 v20, 3, v20
	global_load_dwordx4 v[124:127], v20, s[10:11]
	v_fmac_f32_e32 v149, v21, v122
	v_add_f32_e32 v21, v32, v75
	v_fmac_f32_e32 v147, v25, v120
	v_sub_f32_e32 v24, v32, v75
	v_add_f32_e32 v25, v77, v79
	s_waitcnt vmcnt(0) lgkmcnt(0)
	s_barrier
	v_mul_f32_e32 v20, v27, v125
	v_fma_f32 v151, v26, v124, -v20
	v_mul_f32_e32 v20, v23, v127
	v_fma_f32 v153, v22, v126, -v20
	v_mul_f32_e32 v154, v22, v127
	v_add_f32_e32 v20, v16, v32
	v_fma_f32 v16, -0.5, v21, v16
	v_fmac_f32_e32 v154, v23, v126
	v_sub_f32_e32 v21, v34, v76
	v_mov_b32_e32 v22, v16
	v_add_f32_e32 v23, v34, v76
	v_fmac_f32_e32 v22, 0x3f5db3d7, v21
	v_fmac_f32_e32 v16, 0xbf5db3d7, v21
	v_add_f32_e32 v21, v17, v34
	v_fma_f32 v17, -0.5, v23, v17
	v_mov_b32_e32 v23, v17
	v_mul_f32_e32 v152, v26, v125
	v_fmac_f32_e32 v23, 0xbf5db3d7, v24
	v_fmac_f32_e32 v17, 0x3f5db3d7, v24
	v_add_f32_e32 v24, v18, v77
	v_fma_f32 v18, -0.5, v25, v18
	v_fmac_f32_e32 v152, v27, v124
	v_sub_f32_e32 v25, v78, v80
	v_mov_b32_e32 v26, v18
	v_add_f32_e32 v27, v78, v80
	v_fmac_f32_e32 v26, 0x3f5db3d7, v25
	v_fmac_f32_e32 v18, 0xbf5db3d7, v25
	v_add_f32_e32 v25, v19, v78
	v_fmac_f32_e32 v19, -0.5, v27
	v_sub_f32_e32 v32, v77, v79
	v_mov_b32_e32 v27, v19
	v_fmac_f32_e32 v27, 0xbf5db3d7, v32
	v_fmac_f32_e32 v19, 0x3f5db3d7, v32
	v_add_f32_e32 v32, v12, v81
	v_add_f32_e32 v38, v32, v83
	v_add_f32_e32 v32, v81, v83
	v_fma_f32 v12, -0.5, v32, v12
	v_sub_f32_e32 v32, v82, v55
	v_mov_b32_e32 v53, v12
	v_fmac_f32_e32 v53, 0x3f5db3d7, v32
	v_fmac_f32_e32 v12, 0xbf5db3d7, v32
	v_add_f32_e32 v32, v13, v82
	v_add_f32_e32 v39, v32, v55
	v_add_f32_e32 v32, v82, v55
	v_fma_f32 v13, -0.5, v32, v13
	v_sub_f32_e32 v32, v81, v83
	v_mov_b32_e32 v54, v13
	v_fmac_f32_e32 v54, 0xbf5db3d7, v32
	v_fmac_f32_e32 v13, 0x3f5db3d7, v32
	v_add_f32_e32 v32, v14, v88
	v_add_f32_e32 v55, v32, v90
	v_add_f32_e32 v32, v88, v90
	v_fma_f32 v14, -0.5, v32, v14
	v_sub_f32_e32 v32, v89, v91
	v_mov_b32_e32 v57, v14
	v_fmac_f32_e32 v57, 0x3f5db3d7, v32
	v_fmac_f32_e32 v14, 0xbf5db3d7, v32
	v_add_f32_e32 v32, v15, v89
	v_add_f32_e32 v56, v32, v91
	v_add_f32_e32 v32, v89, v91
	v_fmac_f32_e32 v15, -0.5, v32
	v_sub_f32_e32 v32, v88, v90
	v_mov_b32_e32 v58, v15
	v_fmac_f32_e32 v58, 0xbf5db3d7, v32
	v_fmac_f32_e32 v15, 0x3f5db3d7, v32
	v_add_f32_e32 v32, v8, v128
	v_add_f32_e32 v59, v32, v130
	v_add_f32_e32 v32, v128, v130
	v_fma_f32 v8, -0.5, v32, v8
	v_sub_f32_e32 v32, v129, v63
	v_mov_b32_e32 v61, v8
	v_fmac_f32_e32 v61, 0x3f5db3d7, v32
	v_fmac_f32_e32 v8, 0xbf5db3d7, v32
	v_add_f32_e32 v32, v9, v129
	v_add_f32_e32 v60, v32, v63
	v_add_f32_e32 v32, v129, v63
	v_fma_f32 v9, -0.5, v32, v9
	v_sub_f32_e32 v32, v128, v130
	v_mov_b32_e32 v62, v9
	v_fmac_f32_e32 v62, 0xbf5db3d7, v32
	v_fmac_f32_e32 v9, 0x3f5db3d7, v32
	v_add_f32_e32 v32, v10, v131
	v_add_f32_e32 v63, v32, v133
	v_add_f32_e32 v32, v131, v133
	v_fma_f32 v10, -0.5, v32, v10
	v_sub_f32_e32 v32, v132, v134
	v_mov_b32_e32 v65, v10
	v_fmac_f32_e32 v65, 0x3f5db3d7, v32
	v_fmac_f32_e32 v10, 0xbf5db3d7, v32
	v_add_f32_e32 v32, v11, v132
	v_add_f32_e32 v64, v32, v134
	;; [unrolled: 32-line block ×3, first 2 shown]
	v_add_f32_e32 v32, v141, v143
	v_fmac_f32_e32 v7, -0.5, v32
	v_sub_f32_e32 v32, v140, v142
	v_mov_b32_e32 v74, v7
	v_fmac_f32_e32 v74, 0xbf5db3d7, v32
	v_fmac_f32_e32 v7, 0x3f5db3d7, v32
	v_add_f32_e32 v32, v0, v146
	v_add_f32_e32 v20, v20, v75
	v_add_f32_e32 v75, v32, v148
	v_add_f32_e32 v32, v146, v148
	v_fma_f32 v0, -0.5, v32, v0
	v_sub_f32_e32 v32, v147, v149
	v_mov_b32_e32 v77, v0
	v_fmac_f32_e32 v77, 0x3f5db3d7, v32
	v_fmac_f32_e32 v0, 0xbf5db3d7, v32
	v_add_f32_e32 v32, v1, v147
	v_add_f32_e32 v21, v21, v76
	v_add_f32_e32 v76, v32, v149
	v_add_f32_e32 v32, v147, v149
	v_fma_f32 v1, -0.5, v32, v1
	;; [unrolled: 9-line block ×3, first 2 shown]
	v_sub_f32_e32 v32, v152, v154
	v_mov_b32_e32 v81, v2
	v_fmac_f32_e32 v81, 0x3f5db3d7, v32
	v_fmac_f32_e32 v2, 0xbf5db3d7, v32
	v_add_f32_e32 v32, v3, v152
	v_add_f32_e32 v25, v25, v80
	;; [unrolled: 1-line block ×4, first 2 shown]
	v_fmac_f32_e32 v3, -0.5, v32
	v_sub_f32_e32 v32, v151, v153
	v_mov_b32_e32 v82, v3
	v_fmac_f32_e32 v82, 0xbf5db3d7, v32
	v_fmac_f32_e32 v3, 0x3f5db3d7, v32
	v_mul_u32_u24_e32 v32, 9, v41
	v_add_lshl_u32 v32, v32, v42, 3
	buffer_store_dword v32, off, s[24:27], 0 offset:360 ; 4-byte Folded Spill
	ds_write2_b64 v32, v[20:21], v[22:23] offset1:3
	ds_write_b64 v32, v[16:17] offset:48
	v_mul_u32_u24_e32 v16, 9, v43
	v_add_lshl_u32 v16, v16, v44, 3
	buffer_store_dword v16, off, s[24:27], 0 offset:348 ; 4-byte Folded Spill
	ds_write2_b64 v16, v[24:25], v[26:27] offset1:3
	ds_write_b64 v16, v[18:19] offset:48
	v_mad_legacy_u16 v16, v45, 9, v46
	v_lshlrev_b32_e32 v16, 3, v16
	buffer_store_dword v16, off, s[24:27], 0 offset:328 ; 4-byte Folded Spill
	ds_write2_b64 v16, v[38:39], v[53:54] offset1:3
	ds_write_b64 v16, v[12:13] offset:48
	v_mad_legacy_u16 v12, v47, 9, v48
	v_lshlrev_b32_e32 v12, 3, v12
	;; [unrolled: 5-line block ×8, first 2 shown]
	v_mov_b32_e32 v4, 57
	buffer_store_dword v0, off, s[24:27], 0 offset:256 ; 4-byte Folded Spill
	ds_write2_b64 v0, v[79:80], v[81:82] offset1:3
	ds_write_b64 v0, v[2:3] offset:48
	v_mul_lo_u16_sdwa v0, v33, v4 dst_sel:DWORD dst_unused:UNUSED_PAD src0_sel:BYTE_0 src1_sel:DWORD
	v_lshrrev_b16_e32 v5, 9, v0
	v_mul_lo_u16_e32 v0, 9, v5
	v_sub_u16_e32 v0, v33, v0
	v_and_b32_e32 v6, 0xff, v0
	v_mov_b32_e32 v0, s10
	v_mov_b32_e32 v1, s11
	v_mad_u64_u32 v[2:3], s[8:9], v6, s14, v[0:1]
	s_waitcnt vmcnt(0) lgkmcnt(0)
	s_barrier
	ds_read2_b64 v[20:23], v200 offset1:108
	ds_read2_b64 v[16:19], v164 offset0:88 offset1:196
	ds_read2_b64 v[11:14], v167 offset0:136 offset1:244
	;; [unrolled: 1-line block ×14, first 2 shown]
	global_load_dwordx4 v[220:223], v[2:3], off offset:96
	global_load_dwordx4 v[216:219], v[2:3], off offset:80
	;; [unrolled: 1-line block ×4, first 2 shown]
	v_mov_b32_e32 v164, v161
	v_mov_b32_e32 v161, v158
	;; [unrolled: 1-line block ×6, first 2 shown]
	v_mul_u32_u24_e32 v5, 0x5a, v5
	v_add_lshl_u32 v5, v5, v6, 3
	s_waitcnt vmcnt(3) lgkmcnt(7)
	v_mul_f32_e32 v128, v62, v221
	s_waitcnt vmcnt(2)
	v_mul_f32_e32 v136, v48, v219
	v_fmac_f32_e32 v136, v49, v218
	s_waitcnt vmcnt(0)
	v_mul_f32_e32 v7, v19, v245
	v_fma_f32 v9, v18, v244, -v7
	v_mul_f32_e32 v7, v12, v247
	v_fma_f32 v138, v11, v246, -v7
	;; [unrolled: 2-line block ×7, first 2 shown]
	s_waitcnt lgkmcnt(6)
	v_mul_f32_e32 v7, v143, v223
	v_fma_f32 v141, v142, v222, -v7
	global_load_dwordx2 v[7:8], v[2:3], off offset:112
	s_waitcnt vmcnt(0)
	buffer_store_dword v7, off, s[24:27], 0 offset:272 ; 4-byte Folded Spill
	s_nop 0
	buffer_store_dword v8, off, s[24:27], 0 offset:276 ; 4-byte Folded Spill
	v_mul_f32_e32 v90, v90, v213
	v_fmac_f32_e32 v90, v91, v212
	v_mul_f32_e32 v91, v78, v217
	v_fmac_f32_e32 v91, v79, v216
	v_mul_f32_e32 v10, v18, v245
	v_mul_f32_e32 v134, v11, v247
	v_fmac_f32_e32 v10, v19, v244
	v_fmac_f32_e32 v134, v12, v246
	;; [unrolled: 1-line block ×3, first 2 shown]
	v_mul_f32_e32 v137, v142, v223
	v_mul_f32_e32 v135, v36, v215
	v_fmac_f32_e32 v137, v143, v222
	v_fmac_f32_e32 v135, v37, v214
	v_mov_b32_e32 v37, v158
	v_mov_b32_e32 v36, v157
	;; [unrolled: 1-line block ×3, first 2 shown]
	s_waitcnt lgkmcnt(5)
	v_mul_f32_e32 v2, v43, v8
	v_fma_f32 v133, v42, v7, -v2
	v_mul_lo_u16_sdwa v2, v29, v4 dst_sel:DWORD dst_unused:UNUSED_PAD src0_sel:BYTE_0 src1_sel:DWORD
	v_lshrrev_b16_e32 v3, 9, v2
	v_mul_lo_u16_e32 v2, 9, v3
	v_sub_u16_e32 v2, v29, v2
	v_and_b32_e32 v4, 0xff, v2
	v_mad_u64_u32 v[0:1], s[8:9], v4, s14, v[0:1]
	global_load_dwordx4 v[52:55], v[0:1], off offset:96
	global_load_dwordx4 v[56:59], v[0:1], off offset:80
	;; [unrolled: 1-line block ×4, first 2 shown]
	v_mul_f32_e32 v129, v42, v8
	v_fmac_f32_e32 v129, v43, v7
	s_mov_b32 s8, 0xe38f
	v_mul_u32_u24_e32 v3, 0x5a, v3
	v_add_lshl_u32 v3, v3, v4, 3
	s_waitcnt vmcnt(2) lgkmcnt(2)
	v_mul_f32_e32 v12, v72, v57
	s_waitcnt vmcnt(1)
	v_mul_f32_e32 v11, v80, v65
	s_waitcnt vmcnt(0)
	v_mul_f32_e32 v2, v147, v69
	v_fma_f32 v7, v146, v68, -v2
	v_mul_f32_e32 v2, v14, v71
	v_fma_f32 v78, v13, v70, -v2
	v_mul_f32_e32 v43, v13, v71
	v_mul_f32_e32 v2, v81, v65
	v_fmac_f32_e32 v43, v14, v70
	v_fma_f32 v14, v80, v64, -v2
	v_mul_f32_e32 v2, v39, v67
	v_fma_f32 v79, v38, v66, -v2
	v_mul_f32_e32 v2, v73, v57
	;; [unrolled: 2-line block ×3, first 2 shown]
	v_fma_f32 v80, v50, v58, -v2
	s_waitcnt lgkmcnt(1)
	v_mul_f32_e32 v2, v45, v53
	v_fma_f32 v19, v44, v52, -v2
	v_mul_f32_e32 v13, v44, v53
	v_mul_f32_e32 v2, v145, v55
	v_fmac_f32_e32 v13, v45, v52
	v_fma_f32 v45, v144, v54, -v2
	global_load_dwordx2 v[1:2], v[0:1], off offset:112
	s_waitcnt vmcnt(0)
	buffer_store_dword v1, off, s[24:27], 0 offset:248 ; 4-byte Folded Spill
	s_nop 0
	buffer_store_dword v2, off, s[24:27], 0 offset:252 ; 4-byte Folded Spill
	v_fmac_f32_e32 v12, v73, v56
	v_mul_f32_e32 v73, v50, v59
	v_fmac_f32_e32 v73, v51, v58
	v_fmac_f32_e32 v11, v81, v64
	v_sub_f32_e32 v81, v139, v140
	v_mul_f32_e32 v44, v144, v55
	v_mul_f32_e32 v62, v38, v67
	v_fmac_f32_e32 v44, v145, v54
	v_fmac_f32_e32 v62, v39, v66
	v_mul_f32_e32 v8, v146, v69
	v_fmac_f32_e32 v8, v147, v68
	v_mov_b32_e32 v39, v159
	v_mov_b32_e32 v38, v161
	;; [unrolled: 1-line block ×4, first 2 shown]
	s_waitcnt lgkmcnt(0)
	v_mul_f32_e32 v0, v25, v2
	v_fma_f32 v42, v24, v1, -v0
	v_mul_f32_e32 v18, v24, v2
	v_mul_u32_u24_sdwa v0, v28, s8 dst_sel:DWORD dst_unused:UNUSED_PAD src0_sel:WORD_0 src1_sel:DWORD
	v_fmac_f32_e32 v18, v25, v1
	v_lshrrev_b32_e32 v1, 19, v0
	v_mul_lo_u16_e32 v0, 9, v1
	v_sub_u16_e32 v2, v28, v0
	v_mul_lo_u16_e32 v0, 0x48, v2
	v_add_co_u32_e32 v24, vcc, s10, v0
	v_mov_b32_e32 v0, s11
	v_addc_co_u32_e32 v25, vcc, 0, v0, vcc
	global_load_dwordx4 v[248:251], v[24:25], off offset:96
	global_load_dwordx4 v[252:255], v[24:25], off offset:80
	;; [unrolled: 1-line block ×4, first 2 shown]
	global_load_dwordx2 v[34:35], v[24:25], off offset:112
	s_waitcnt vmcnt(0)
	buffer_store_dword v34, off, s[24:27], 0 offset:468 ; 4-byte Folded Spill
	s_nop 0
	buffer_store_dword v35, off, s[24:27], 0 offset:472 ; 4-byte Folded Spill
	v_mul_f32_e32 v32, v149, v49
	v_fma_f32 v63, v148, v48, -v32
	v_mul_f32_e32 v32, v89, v51
	v_mul_f32_e32 v72, v148, v49
	v_fma_f32 v151, v88, v50, -v32
	v_mul_f32_e32 v32, v83, v209
	v_fmac_f32_e32 v72, v149, v48
	v_fma_f32 v149, v82, v208, -v32
	v_mul_f32_e32 v32, v77, v211
	v_fma_f32 v153, v76, v210, -v32
	v_mul_f32_e32 v32, v75, v253
	v_mul_f32_e32 v152, v76, v211
	v_fma_f32 v76, v74, v252, -v32
	v_mul_f32_e32 v32, v61, v255
	v_fmac_f32_e32 v152, v77, v210
	v_mul_f32_e32 v74, v74, v253
	v_fma_f32 v77, v60, v254, -v32
	v_mul_f32_e32 v32, v47, v249
	v_fmac_f32_e32 v74, v75, v252
	v_mul_f32_e32 v75, v60, v255
	v_fma_f32 v60, v46, v248, -v32
	v_mul_f32_e32 v46, v46, v249
	v_add_f32_e32 v25, v139, v140
	v_fmac_f32_e32 v46, v47, v248
	v_fma_f32 v25, -0.5, v25, v20
	v_fmac_f32_e32 v75, v61, v254
	v_mul_f32_e32 v32, v41, v251
	v_fma_f32 v155, v40, v250, -v32
	v_mul_f32_e32 v154, v40, v251
	v_sub_f32_e32 v32, v135, v136
	v_sub_f32_e32 v40, v141, v140
	v_fmac_f32_e32 v154, v41, v250
	v_sub_f32_e32 v41, v140, v141
	v_mul_f32_e32 v148, v82, v209
	v_fmac_f32_e32 v148, v83, v208
	v_sub_f32_e32 v82, v134, v135
	v_sub_f32_e32 v83, v137, v136
	v_add_f32_e32 v82, v82, v83
	v_mul_f32_e32 v150, v88, v51
	v_sub_f32_e32 v83, v135, v134
	v_sub_f32_e32 v88, v136, v137
	v_add_f32_e32 v83, v83, v88
	v_fmac_f32_e32 v150, v89, v50
	v_sub_f32_e32 v89, v91, v128
	s_movk_i32 s8, 0x5a
	v_mad_legacy_u16 v1, v1, s8, v2
	v_lshlrev_b32_e32 v1, 3, v1
	s_waitcnt vmcnt(0)
	s_barrier
	buffer_store_dword v5, off, s[24:27], 0 offset:324 ; 4-byte Folded Spill
	v_cmp_gt_u16_e32 vcc, s8, v33
	s_movk_i32 s8, 0xb7
	v_mul_f32_e32 v24, v27, v35
	v_mul_f32_e32 v47, v26, v35
	v_fma_f32 v61, v26, v34, -v24
	v_fmac_f32_e32 v47, v27, v34
	v_sub_f32_e32 v26, v134, v137
	v_mov_b32_e32 v27, v25
	v_fmac_f32_e32 v27, 0x3f737871, v26
	v_sub_f32_e32 v34, v138, v139
	v_fmac_f32_e32 v25, 0xbf737871, v26
	v_fmac_f32_e32 v27, 0x3f167918, v32
	v_add_f32_e32 v34, v34, v40
	v_fmac_f32_e32 v25, 0xbf167918, v32
	v_fmac_f32_e32 v27, 0x3e9e377a, v34
	;; [unrolled: 1-line block ×3, first 2 shown]
	v_add_f32_e32 v34, v138, v141
	v_add_f32_e32 v24, v20, v138
	v_fma_f32 v20, -0.5, v34, v20
	v_mov_b32_e32 v34, v20
	v_fmac_f32_e32 v34, 0xbf737871, v32
	v_sub_f32_e32 v40, v139, v138
	v_fmac_f32_e32 v20, 0x3f737871, v32
	v_add_f32_e32 v32, v135, v136
	v_fmac_f32_e32 v34, 0x3f167918, v26
	v_add_f32_e32 v40, v40, v41
	v_fmac_f32_e32 v20, 0xbf167918, v26
	v_fma_f32 v32, -0.5, v32, v21
	v_fmac_f32_e32 v34, 0x3e9e377a, v40
	v_fmac_f32_e32 v20, 0x3e9e377a, v40
	v_sub_f32_e32 v40, v138, v141
	v_mov_b32_e32 v41, v32
	v_fmac_f32_e32 v41, 0xbf737871, v40
	v_fmac_f32_e32 v32, 0x3f737871, v40
	;; [unrolled: 1-line block ×6, first 2 shown]
	v_add_f32_e32 v82, v134, v137
	v_add_f32_e32 v26, v21, v134
	v_fma_f32 v21, -0.5, v82, v21
	v_mov_b32_e32 v82, v21
	v_fmac_f32_e32 v82, 0x3f737871, v81
	v_fmac_f32_e32 v21, 0xbf737871, v81
	v_add_f32_e32 v81, v131, v132
	v_fmac_f32_e32 v82, 0xbf167918, v40
	v_fmac_f32_e32 v21, 0x3f167918, v40
	v_fma_f32 v81, -0.5, v81, v9
	v_fmac_f32_e32 v82, 0x3e9e377a, v83
	v_fmac_f32_e32 v21, 0x3e9e377a, v83
	v_sub_f32_e32 v83, v90, v129
	v_mov_b32_e32 v88, v81
	v_add_f32_e32 v26, v26, v135
	v_fmac_f32_e32 v88, 0x3f737871, v83
	v_sub_f32_e32 v134, v130, v131
	v_sub_f32_e32 v135, v133, v132
	v_fmac_f32_e32 v81, 0xbf737871, v83
	v_fmac_f32_e32 v88, 0x3f167918, v89
	v_add_f32_e32 v134, v134, v135
	v_fmac_f32_e32 v81, 0xbf167918, v89
	v_fmac_f32_e32 v88, 0x3e9e377a, v134
	;; [unrolled: 1-line block ×3, first 2 shown]
	v_add_f32_e32 v134, v130, v133
	v_add_f32_e32 v40, v9, v130
	v_fmac_f32_e32 v9, -0.5, v134
	v_mov_b32_e32 v134, v9
	v_add_f32_e32 v40, v40, v131
	v_fmac_f32_e32 v134, 0xbf737871, v89
	v_fmac_f32_e32 v9, 0x3f737871, v89
	v_add_f32_e32 v89, v91, v128
	v_add_f32_e32 v26, v26, v136
	;; [unrolled: 1-line block ×3, first 2 shown]
	v_sub_f32_e32 v135, v131, v130
	v_sub_f32_e32 v136, v132, v133
	v_fma_f32 v89, -0.5, v89, v10
	v_add_f32_e32 v40, v40, v133
	v_fmac_f32_e32 v134, 0x3f167918, v83
	v_add_f32_e32 v135, v135, v136
	v_fmac_f32_e32 v9, 0xbf167918, v83
	v_sub_f32_e32 v130, v130, v133
	v_mov_b32_e32 v133, v89
	v_fmac_f32_e32 v134, 0x3e9e377a, v135
	v_fmac_f32_e32 v9, 0x3e9e377a, v135
	;; [unrolled: 1-line block ×3, first 2 shown]
	v_sub_f32_e32 v131, v131, v132
	v_sub_f32_e32 v132, v90, v91
	;; [unrolled: 1-line block ×3, first 2 shown]
	v_fmac_f32_e32 v89, 0x3f737871, v130
	v_fmac_f32_e32 v133, 0xbf167918, v131
	v_add_f32_e32 v132, v132, v135
	v_fmac_f32_e32 v89, 0x3f167918, v131
	v_fmac_f32_e32 v133, 0x3e9e377a, v132
	;; [unrolled: 1-line block ×3, first 2 shown]
	v_add_f32_e32 v132, v90, v129
	v_add_f32_e32 v83, v10, v90
	v_fmac_f32_e32 v10, -0.5, v132
	v_mov_b32_e32 v132, v10
	v_add_f32_e32 v83, v83, v91
	v_fmac_f32_e32 v132, 0x3f737871, v131
	v_sub_f32_e32 v90, v91, v90
	v_sub_f32_e32 v91, v128, v129
	v_fmac_f32_e32 v10, 0xbf737871, v131
	v_fmac_f32_e32 v132, 0xbf167918, v130
	v_add_f32_e32 v90, v90, v91
	v_fmac_f32_e32 v10, 0x3f167918, v130
	v_fmac_f32_e32 v132, 0x3e9e377a, v90
	;; [unrolled: 1-line block ×3, first 2 shown]
	v_mul_f32_e32 v90, 0x3f167918, v133
	v_mul_f32_e32 v130, 0xbe9e377a, v9
	v_fmac_f32_e32 v90, 0x3f4f1bbd, v88
	v_fmac_f32_e32 v130, 0x3f737871, v10
	v_mul_f32_e32 v131, 0xbf4f1bbd, v81
	v_mul_f32_e32 v88, 0xbf167918, v88
	v_mul_f32_e32 v10, 0xbe9e377a, v10
	v_fmac_f32_e32 v131, 0x3f167918, v89
	v_fmac_f32_e32 v88, 0x3f4f1bbd, v133
	v_mul_f32_e32 v133, 0xbf737871, v134
	v_fmac_f32_e32 v10, 0xbf737871, v9
	v_add_f32_e32 v24, v24, v139
	v_add_f32_e32 v83, v83, v128
	v_mul_f32_e32 v91, 0x3f737871, v132
	v_add_f32_e32 v128, v25, v131
	v_fmac_f32_e32 v133, 0x3e9e377a, v132
	v_add_f32_e32 v143, v21, v10
	v_sub_f32_e32 v132, v25, v131
	v_sub_f32_e32 v131, v21, v10
	v_add_f32_e32 v10, v79, v80
	v_add_f32_e32 v24, v24, v140
	v_fma_f32 v10, -0.5, v10, v22
	v_add_f32_e32 v24, v24, v141
	v_add_f32_e32 v26, v26, v137
	;; [unrolled: 1-line block ×4, first 2 shown]
	v_sub_f32_e32 v130, v20, v130
	v_sub_f32_e32 v20, v43, v44
	v_mov_b32_e32 v21, v10
	v_add_f32_e32 v144, v24, v40
	v_add_f32_e32 v145, v26, v83
	v_sub_f32_e32 v140, v24, v40
	v_sub_f32_e32 v141, v26, v83
	v_fmac_f32_e32 v21, 0x3f737871, v20
	v_sub_f32_e32 v24, v62, v73
	v_sub_f32_e32 v25, v78, v79
	;; [unrolled: 1-line block ×3, first 2 shown]
	v_fmac_f32_e32 v10, 0xbf737871, v20
	v_mul_f32_e32 v9, 0xbf4f1bbd, v89
	v_fmac_f32_e32 v21, 0x3f167918, v24
	v_add_f32_e32 v25, v25, v26
	v_fmac_f32_e32 v10, 0xbf167918, v24
	v_fmac_f32_e32 v9, 0xbf167918, v81
	;; [unrolled: 1-line block ×4, first 2 shown]
	v_add_f32_e32 v25, v78, v45
	v_add_f32_e32 v139, v82, v133
	;; [unrolled: 1-line block ×3, first 2 shown]
	v_sub_f32_e32 v137, v82, v133
	v_sub_f32_e32 v133, v32, v9
	v_add_f32_e32 v9, v22, v78
	v_fma_f32 v22, -0.5, v25, v22
	v_mov_b32_e32 v25, v22
	v_fmac_f32_e32 v25, 0xbf737871, v24
	v_fmac_f32_e32 v22, 0x3f737871, v24
	;; [unrolled: 1-line block ×4, first 2 shown]
	v_add_f32_e32 v20, v23, v43
	v_add_f32_e32 v20, v20, v62
	;; [unrolled: 1-line block ×3, first 2 shown]
	v_fmac_f32_e32 v91, 0x3e9e377a, v134
	v_sub_f32_e32 v134, v27, v90
	v_sub_f32_e32 v26, v79, v78
	;; [unrolled: 1-line block ×3, first 2 shown]
	v_add_f32_e32 v20, v20, v73
	v_add_f32_e32 v26, v26, v27
	;; [unrolled: 1-line block ×4, first 2 shown]
	v_fma_f32 v32, -0.5, v20, v23
	v_add_f32_e32 v138, v34, v91
	v_sub_f32_e32 v136, v34, v91
	v_sub_f32_e32 v20, v78, v45
	v_mov_b32_e32 v34, v32
	v_fmac_f32_e32 v25, 0x3e9e377a, v26
	v_fmac_f32_e32 v22, 0x3e9e377a, v26
	;; [unrolled: 1-line block ×3, first 2 shown]
	v_sub_f32_e32 v24, v79, v80
	v_sub_f32_e32 v26, v43, v62
	;; [unrolled: 1-line block ×3, first 2 shown]
	v_fmac_f32_e32 v32, 0x3f737871, v20
	v_fmac_f32_e32 v34, 0xbf167918, v24
	v_add_f32_e32 v26, v26, v40
	v_fmac_f32_e32 v32, 0x3f167918, v24
	v_add_f32_e32 v9, v9, v79
	v_fmac_f32_e32 v34, 0x3e9e377a, v26
	v_fmac_f32_e32 v32, 0x3e9e377a, v26
	v_add_f32_e32 v26, v43, v44
	v_add_f32_e32 v9, v9, v80
	v_fmac_f32_e32 v23, -0.5, v26
	v_add_f32_e32 v9, v9, v45
	v_mov_b32_e32 v45, v23
	v_fmac_f32_e32 v45, 0x3f737871, v24
	v_sub_f32_e32 v26, v62, v43
	v_sub_f32_e32 v40, v73, v44
	v_fmac_f32_e32 v23, 0xbf737871, v24
	v_add_f32_e32 v24, v15, v19
	v_fmac_f32_e32 v45, 0xbf167918, v20
	v_add_f32_e32 v26, v26, v40
	v_fmac_f32_e32 v23, 0x3f167918, v20
	v_fma_f32 v24, -0.5, v24, v7
	v_fmac_f32_e32 v45, 0x3e9e377a, v26
	v_fmac_f32_e32 v23, 0x3e9e377a, v26
	v_sub_f32_e32 v26, v11, v18
	v_mov_b32_e32 v40, v24
	v_add_f32_e32 v147, v41, v88
	v_sub_f32_e32 v135, v41, v88
	v_fmac_f32_e32 v40, 0x3f737871, v26
	v_sub_f32_e32 v41, v12, v13
	v_sub_f32_e32 v43, v14, v15
	;; [unrolled: 1-line block ×3, first 2 shown]
	v_fmac_f32_e32 v24, 0xbf737871, v26
	v_fmac_f32_e32 v40, 0x3f167918, v41
	v_add_f32_e32 v43, v43, v44
	v_fmac_f32_e32 v24, 0xbf167918, v41
	v_fmac_f32_e32 v40, 0x3e9e377a, v43
	;; [unrolled: 1-line block ×3, first 2 shown]
	v_add_f32_e32 v43, v14, v42
	v_add_f32_e32 v20, v7, v14
	v_fmac_f32_e32 v7, -0.5, v43
	v_mov_b32_e32 v43, v7
	v_fmac_f32_e32 v43, 0xbf737871, v41
	v_fmac_f32_e32 v7, 0x3f737871, v41
	;; [unrolled: 1-line block ×4, first 2 shown]
	v_add_f32_e32 v26, v8, v11
	v_add_f32_e32 v26, v26, v12
	;; [unrolled: 1-line block ×7, first 2 shown]
	v_sub_f32_e32 v44, v15, v14
	v_sub_f32_e32 v62, v19, v42
	v_fma_f32 v26, -0.5, v26, v8
	v_add_f32_e32 v20, v20, v42
	v_add_f32_e32 v44, v44, v62
	v_sub_f32_e32 v14, v14, v42
	v_mov_b32_e32 v42, v26
	v_fmac_f32_e32 v43, 0x3e9e377a, v44
	v_fmac_f32_e32 v7, 0x3e9e377a, v44
	;; [unrolled: 1-line block ×3, first 2 shown]
	v_sub_f32_e32 v15, v15, v19
	v_sub_f32_e32 v19, v11, v12
	;; [unrolled: 1-line block ×3, first 2 shown]
	v_fmac_f32_e32 v26, 0x3f737871, v14
	v_fmac_f32_e32 v42, 0xbf167918, v15
	v_add_f32_e32 v19, v19, v44
	v_fmac_f32_e32 v26, 0x3f167918, v15
	v_fmac_f32_e32 v42, 0x3e9e377a, v19
	;; [unrolled: 1-line block ×3, first 2 shown]
	v_add_f32_e32 v19, v11, v18
	v_fmac_f32_e32 v8, -0.5, v19
	v_mov_b32_e32 v19, v8
	v_sub_f32_e32 v11, v12, v11
	v_sub_f32_e32 v12, v13, v18
	v_fmac_f32_e32 v8, 0xbf737871, v15
	v_fmac_f32_e32 v19, 0x3f737871, v15
	v_add_f32_e32 v11, v11, v12
	v_fmac_f32_e32 v8, 0x3f167918, v14
	v_fmac_f32_e32 v19, 0xbf167918, v14
	;; [unrolled: 1-line block ×3, first 2 shown]
	v_mul_f32_e32 v13, 0xbe9e377a, v7
	v_fmac_f32_e32 v19, 0x3e9e377a, v11
	v_mul_f32_e32 v11, 0x3f167918, v42
	v_fmac_f32_e32 v13, 0x3f737871, v8
	;; [unrolled: 2-line block ×3, first 2 shown]
	v_fmac_f32_e32 v8, 0xbf737871, v7
	v_mul_f32_e32 v7, 0xbf4f1bbd, v26
	v_add_f32_e32 v90, v21, v11
	v_mul_f32_e32 v14, 0xbf4f1bbd, v24
	v_add_f32_e32 v83, v23, v8
	v_fmac_f32_e32 v7, 0xbf167918, v24
	v_sub_f32_e32 v24, v21, v11
	v_sub_f32_e32 v21, v23, v8
	v_add_f32_e32 v8, v153, v77
	v_mul_f32_e32 v12, 0x3f737871, v19
	v_fmac_f32_e32 v14, 0x3f167918, v26
	v_fma_f32 v8, -0.5, v8, v16
	v_add_f32_e32 v88, v9, v20
	v_fmac_f32_e32 v12, 0x3e9e377a, v43
	v_add_f32_e32 v82, v22, v13
	v_add_f32_e32 v18, v10, v14
	v_mul_f32_e32 v15, 0xbf167918, v40
	v_sub_f32_e32 v40, v9, v20
	v_sub_f32_e32 v20, v22, v13
	;; [unrolled: 1-line block ×4, first 2 shown]
	v_mov_b32_e32 v10, v8
	v_add_f32_e32 v80, v25, v12
	v_sub_f32_e32 v26, v25, v12
	v_fmac_f32_e32 v10, 0x3f737871, v9
	v_sub_f32_e32 v11, v152, v75
	v_sub_f32_e32 v12, v151, v153
	;; [unrolled: 1-line block ×3, first 2 shown]
	v_fmac_f32_e32 v8, 0xbf737871, v9
	v_fmac_f32_e32 v10, 0x3f167918, v11
	v_add_f32_e32 v12, v12, v13
	v_fmac_f32_e32 v8, 0xbf167918, v11
	v_fmac_f32_e32 v10, 0x3e9e377a, v12
	;; [unrolled: 1-line block ×3, first 2 shown]
	v_add_f32_e32 v12, v151, v155
	v_fma_f32 v12, -0.5, v12, v16
	v_fmac_f32_e32 v15, 0x3f4f1bbd, v42
	v_mov_b32_e32 v13, v12
	v_add_f32_e32 v91, v34, v15
	v_sub_f32_e32 v25, v34, v15
	v_fmac_f32_e32 v13, 0xbf737871, v11
	v_sub_f32_e32 v14, v153, v151
	v_sub_f32_e32 v15, v77, v155
	v_fmac_f32_e32 v12, 0x3f737871, v11
	v_add_f32_e32 v11, v152, v75
	v_fmac_f32_e32 v13, 0x3f167918, v9
	v_add_f32_e32 v14, v14, v15
	v_fmac_f32_e32 v12, 0xbf167918, v9
	v_fma_f32 v11, -0.5, v11, v17
	v_mul_f32_e32 v42, 0xbf737871, v43
	v_fmac_f32_e32 v13, 0x3e9e377a, v14
	v_fmac_f32_e32 v12, 0x3e9e377a, v14
	v_sub_f32_e32 v14, v151, v155
	v_mov_b32_e32 v15, v11
	v_fmac_f32_e32 v42, 0x3e9e377a, v19
	v_add_f32_e32 v19, v32, v7
	v_sub_f32_e32 v23, v32, v7
	v_add_f32_e32 v7, v16, v151
	v_fmac_f32_e32 v15, 0xbf737871, v14
	v_sub_f32_e32 v16, v153, v77
	v_sub_f32_e32 v32, v150, v152
	;; [unrolled: 1-line block ×3, first 2 shown]
	v_fmac_f32_e32 v11, 0x3f737871, v14
	v_fmac_f32_e32 v15, 0xbf167918, v16
	v_add_f32_e32 v32, v32, v34
	v_fmac_f32_e32 v11, 0x3f167918, v16
	v_fmac_f32_e32 v15, 0x3e9e377a, v32
	;; [unrolled: 1-line block ×3, first 2 shown]
	v_add_f32_e32 v32, v150, v154
	v_add_f32_e32 v9, v17, v150
	v_fmac_f32_e32 v17, -0.5, v32
	v_mov_b32_e32 v32, v17
	v_add_f32_e32 v89, v27, v41
	v_add_f32_e32 v81, v45, v42
	v_sub_f32_e32 v41, v27, v41
	v_sub_f32_e32 v27, v45, v42
	v_fmac_f32_e32 v32, 0x3f737871, v16
	v_sub_f32_e32 v34, v152, v150
	v_sub_f32_e32 v42, v75, v154
	v_fmac_f32_e32 v17, 0xbf737871, v16
	v_add_f32_e32 v16, v76, v60
	v_fmac_f32_e32 v32, 0xbf167918, v14
	v_add_f32_e32 v34, v34, v42
	v_fmac_f32_e32 v17, 0x3f167918, v14
	v_fma_f32 v16, -0.5, v16, v63
	v_fmac_f32_e32 v32, 0x3e9e377a, v34
	v_fmac_f32_e32 v17, 0x3e9e377a, v34
	v_sub_f32_e32 v34, v148, v47
	v_mov_b32_e32 v45, v16
	v_fmac_f32_e32 v45, 0x3f737871, v34
	v_sub_f32_e32 v42, v74, v46
	v_sub_f32_e32 v43, v149, v76
	;; [unrolled: 1-line block ×3, first 2 shown]
	v_fmac_f32_e32 v16, 0xbf737871, v34
	v_fmac_f32_e32 v45, 0x3f167918, v42
	v_add_f32_e32 v43, v43, v44
	v_fmac_f32_e32 v16, 0xbf167918, v42
	v_fmac_f32_e32 v45, 0x3e9e377a, v43
	;; [unrolled: 1-line block ×3, first 2 shown]
	v_add_f32_e32 v43, v149, v61
	v_add_f32_e32 v14, v63, v149
	v_fmac_f32_e32 v63, -0.5, v43
	v_mov_b32_e32 v73, v63
	v_add_f32_e32 v9, v9, v152
	v_add_f32_e32 v14, v14, v76
	v_fmac_f32_e32 v73, 0xbf737871, v42
	v_fmac_f32_e32 v63, 0x3f737871, v42
	v_add_f32_e32 v42, v74, v46
	v_add_f32_e32 v9, v9, v75
	v_add_f32_e32 v14, v14, v60
	v_sub_f32_e32 v43, v76, v149
	v_sub_f32_e32 v44, v60, v61
	v_fma_f32 v75, -0.5, v42, v72
	v_add_f32_e32 v14, v14, v61
	v_fmac_f32_e32 v73, 0x3f167918, v34
	v_add_f32_e32 v43, v43, v44
	v_fmac_f32_e32 v63, 0xbf167918, v34
	v_sub_f32_e32 v42, v149, v61
	v_mov_b32_e32 v61, v75
	v_fmac_f32_e32 v73, 0x3e9e377a, v43
	v_fmac_f32_e32 v63, 0x3e9e377a, v43
	;; [unrolled: 1-line block ×3, first 2 shown]
	v_sub_f32_e32 v43, v76, v60
	v_sub_f32_e32 v44, v148, v74
	;; [unrolled: 1-line block ×3, first 2 shown]
	v_fmac_f32_e32 v75, 0x3f737871, v42
	v_fmac_f32_e32 v61, 0xbf167918, v43
	v_add_f32_e32 v44, v44, v60
	v_fmac_f32_e32 v75, 0x3f167918, v43
	v_fmac_f32_e32 v61, 0x3e9e377a, v44
	;; [unrolled: 1-line block ×3, first 2 shown]
	v_add_f32_e32 v44, v148, v47
	v_add_f32_e32 v34, v72, v148
	v_fmac_f32_e32 v72, -0.5, v44
	v_add_f32_e32 v34, v34, v74
	v_mov_b32_e32 v76, v72
	v_add_f32_e32 v34, v34, v46
	v_fmac_f32_e32 v76, 0x3f737871, v43
	v_sub_f32_e32 v44, v74, v148
	v_sub_f32_e32 v46, v46, v47
	v_fmac_f32_e32 v76, 0xbf167918, v42
	v_add_f32_e32 v44, v44, v46
	v_fmac_f32_e32 v72, 0xbf737871, v43
	v_add_f32_e32 v7, v7, v153
	v_fmac_f32_e32 v76, 0x3e9e377a, v44
	v_fmac_f32_e32 v72, 0x3f167918, v42
	v_add_f32_e32 v7, v7, v77
	v_fmac_f32_e32 v72, 0x3e9e377a, v44
	v_mul_f32_e32 v74, 0x3f167918, v61
	v_mul_f32_e32 v77, 0x3f737871, v76
	;; [unrolled: 1-line block ×3, first 2 shown]
	v_add_f32_e32 v7, v7, v155
	v_add_f32_e32 v9, v9, v154
	;; [unrolled: 1-line block ×3, first 2 shown]
	v_fmac_f32_e32 v74, 0x3f4f1bbd, v45
	v_fmac_f32_e32 v77, 0x3e9e377a, v73
	v_mul_f32_e32 v79, 0xbe9e377a, v63
	v_mul_f32_e32 v148, 0xbf4f1bbd, v16
	v_fmac_f32_e32 v149, 0x3f4f1bbd, v61
	v_mul_f32_e32 v73, 0xbf737871, v73
	v_mul_f32_e32 v150, 0xbe9e377a, v72
	;; [unrolled: 1-line block ×3, first 2 shown]
	v_add_f32_e32 v42, v7, v14
	v_add_f32_e32 v60, v10, v74
	v_fmac_f32_e32 v79, 0x3f737871, v72
	v_fmac_f32_e32 v148, 0x3f167918, v75
	v_add_f32_e32 v43, v9, v34
	v_add_f32_e32 v61, v15, v149
	v_fmac_f32_e32 v73, 0x3e9e377a, v76
	v_fmac_f32_e32 v150, 0xbf737871, v63
	;; [unrolled: 1-line block ×3, first 2 shown]
	v_add_f32_e32 v44, v13, v77
	v_add_f32_e32 v62, v12, v79
	;; [unrolled: 1-line block ×6, first 2 shown]
	v_sub_f32_e32 v78, v7, v14
	v_sub_f32_e32 v74, v10, v74
	;; [unrolled: 1-line block ×10, first 2 shown]
	ds_write2_b64 v5, v[144:145], v[146:147] offset1:9
	ds_write2_b64 v5, v[138:139], v[142:143] offset0:18 offset1:27
	ds_write2_b64 v5, v[128:129], v[140:141] offset0:36 offset1:45
	;; [unrolled: 1-line block ×4, first 2 shown]
	ds_write2_b64 v3, v[88:89], v[90:91] offset1:9
	ds_write2_b64 v3, v[80:81], v[82:83] offset0:18 offset1:27
	buffer_store_dword v3, off, s[24:27], 0 offset:260 ; 4-byte Folded Spill
	ds_write2_b64 v3, v[18:19], v[40:41] offset0:36 offset1:45
	ds_write2_b64 v3, v[24:25], v[26:27] offset0:54 offset1:63
	;; [unrolled: 1-line block ×3, first 2 shown]
	buffer_store_dword v1, off, s[24:27], 0 offset:264 ; 4-byte Folded Spill
	ds_write2_b64 v1, v[42:43], v[60:61] offset1:9
	ds_write2_b64 v1, v[44:45], v[62:63] offset0:18 offset1:27
	ds_write2_b64 v1, v[46:47], v[78:79] offset0:36 offset1:45
	;; [unrolled: 1-line block ×4, first 2 shown]
	v_add_u32_e32 v1, 0xffffffa6, v33
	v_cndmask_b32_e32 v26, v1, v33, vcc
	v_mul_i32_i24_e32 v1, 40, v26
	v_mul_hi_i32_i24_e32 v2, 40, v26
	v_add_co_u32_e32 v1, vcc, s10, v1
	v_addc_co_u32_e32 v2, vcc, v0, v2, vcc
	s_waitcnt vmcnt(0) lgkmcnt(0)
	s_barrier
	ds_read2_b64 v[136:139], v200 offset1:108
	ds_read2_b64 v[128:131], v159 offset0:48 offset1:156
	ds_read2_b64 v[3:6], v163 offset0:56 offset1:164
	;; [unrolled: 1-line block ×14, first 2 shown]
	global_load_dwordx2 v[20:21], v[1:2], off offset:728
	global_load_dwordx4 v[226:229], v[1:2], off offset:712
	global_load_dwordx4 v[232:235], v[1:2], off offset:696
	s_waitcnt vmcnt(2)
	buffer_store_dword v20, off, s[24:27], 0 offset:280 ; 4-byte Folded Spill
	s_nop 0
	buffer_store_dword v21, off, s[24:27], 0 offset:284 ; 4-byte Folded Spill
	v_mov_b32_e32 v35, v156
	s_waitcnt vmcnt(2) lgkmcnt(12)
	v_mul_f32_e32 v34, v3, v235
	v_mul_f32_e32 v2, v130, v233
	;; [unrolled: 1-line block ×3, first 2 shown]
	v_fmac_f32_e32 v34, v4, v234
	s_waitcnt lgkmcnt(10)
	v_mul_f32_e32 v4, v12, v229
	v_mul_f32_e32 v1, v131, v233
	v_fmac_f32_e32 v2, v131, v232
	v_fma_f32 v131, v11, v228, -v4
	v_mul_f32_e32 v11, v11, v229
	v_fmac_f32_e32 v11, v12, v228
	v_fma_f32 v1, v130, v232, -v1
	v_fma_f32 v32, v3, v234, -v19
	v_mul_f32_e32 v3, v10, v227
	v_mul_f32_e32 v130, v9, v227
	v_fma_f32 v3, v9, v226, -v3
	v_fmac_f32_e32 v130, v10, v226
	v_mov_b32_e32 v40, v160
	v_mov_b32_e32 v43, v162
	;; [unrolled: 1-line block ×9, first 2 shown]
	s_waitcnt lgkmcnt(9)
	v_mul_f32_e32 v4, v18, v21
	v_fma_f32 v12, v17, v20, -v4
	v_mul_lo_u16_sdwa v4, v29, s8 dst_sel:DWORD dst_unused:UNUSED_PAD src0_sel:BYTE_0 src1_sel:DWORD
	v_lshrrev_b16_e32 v24, 14, v4
	v_mul_lo_u16_e32 v4, 0x5a, v24
	v_sub_u16_e32 v4, v29, v4
	v_and_b32_e32 v25, 0xff, v4
	v_mad_u64_u32 v[9:10], s[8:9], v25, 40, s[10:11]
	v_mul_f32_e32 v17, v17, v21
	v_fmac_f32_e32 v17, v18, v20
	global_load_dwordx2 v[18:19], v[9:10], off offset:728
	global_load_dwordx4 v[236:239], v[9:10], off offset:712
	global_load_dwordx4 v[240:243], v[9:10], off offset:696
	s_waitcnt vmcnt(2)
	buffer_store_dword v18, off, s[24:27], 0 offset:296 ; 4-byte Folded Spill
	s_nop 0
	buffer_store_dword v19, off, s[24:27], 0 offset:300 ; 4-byte Folded Spill
	s_movk_i32 s8, 0x2d83
	s_waitcnt vmcnt(2) lgkmcnt(8)
	v_mul_f32_e32 v4, v73, v241
	v_fma_f32 v27, v72, v240, -v4
	v_mul_f32_e32 v4, v6, v243
	v_fma_f32 v156, v5, v242, -v4
	s_waitcnt lgkmcnt(7)
	v_mul_f32_e32 v4, v77, v237
	v_fma_f32 v158, v76, v236, -v4
	v_mul_f32_e32 v4, v14, v239
	v_fma_f32 v160, v13, v238, -v4
	v_mul_f32_e32 v157, v5, v243
	v_mul_f32_e32 v29, v72, v241
	;; [unrolled: 1-line block ×3, first 2 shown]
	v_fmac_f32_e32 v29, v73, v240
	v_fmac_f32_e32 v159, v77, v236
	;; [unrolled: 1-line block ×3, first 2 shown]
	v_add_f32_e32 v6, v34, v11
	v_mul_f32_e32 v161, v13, v239
	v_fmac_f32_e32 v161, v14, v238
	s_waitcnt lgkmcnt(6)
	v_mul_f32_e32 v4, v81, v19
	v_fma_f32 v162, v80, v18, -v4
	v_mul_u32_u24_sdwa v4, v28, s8 dst_sel:DWORD dst_unused:UNUSED_PAD src0_sel:WORD_0 src1_sel:DWORD
	v_lshrrev_b32_e32 v22, 20, v4
	v_mul_lo_u16_e32 v4, 0x5a, v22
	v_sub_u16_e32 v23, v28, v4
	v_mul_lo_u16_e32 v4, 40, v23
	v_add_co_u32_e32 v4, vcc, s10, v4
	v_addc_co_u32_e32 v5, vcc, 0, v0, vcc
	global_load_dwordx2 v[9:10], v[4:5], off offset:728
	global_load_dwordx4 v[204:207], v[4:5], off offset:712
	global_load_dwordx4 v[60:63], v[4:5], off offset:696
	s_waitcnt vmcnt(2)
	buffer_store_dword v9, off, s[24:27], 0 offset:308 ; 4-byte Folded Spill
	s_nop 0
	buffer_store_dword v10, off, s[24:27], 0 offset:312 ; 4-byte Folded Spill
	s_waitcnt vmcnt(3)
	v_mul_f32_e32 v174, v78, v205
	s_waitcnt vmcnt(2)
	v_mul_f32_e32 v4, v75, v61
	v_fma_f32 v28, v74, v60, -v4
	s_waitcnt lgkmcnt(4)
	v_mul_f32_e32 v4, v89, v63
	v_fma_f32 v171, v88, v62, -v4
	v_mul_f32_e32 v4, v79, v205
	v_fma_f32 v173, v78, v204, -v4
	s_waitcnt lgkmcnt(3)
	v_mul_f32_e32 v4, v141, v207
	v_fma_f32 v175, v140, v206, -v4
	v_mul_f32_e32 v140, v140, v207
	v_fmac_f32_e32 v140, v141, v206
	v_mul_f32_e32 v170, v74, v61
	v_fmac_f32_e32 v170, v75, v60
	v_fmac_f32_e32 v174, v79, v204
	v_mul_f32_e32 v163, v80, v19
	v_fmac_f32_e32 v163, v81, v18
	v_mul_f32_e32 v172, v88, v63
	;; [unrolled: 2-line block ×3, first 2 shown]
	v_fma_f32 v141, v82, v9, -v4
	v_mul_u32_u24_sdwa v4, v30, s8 dst_sel:DWORD dst_unused:UNUSED_PAD src0_sel:WORD_0 src1_sel:DWORD
	v_lshrrev_b32_e32 v20, 20, v4
	v_mul_lo_u16_e32 v4, 0x5a, v20
	v_sub_u16_e32 v21, v30, v4
	v_mul_lo_u16_e32 v4, 40, v21
	v_add_co_u32_e32 v4, vcc, s10, v4
	v_mul_f32_e32 v176, v82, v10
	v_addc_co_u32_e32 v5, vcc, 0, v0, vcc
	v_fmac_f32_e32 v176, v83, v9
	global_load_dwordx2 v[9:10], v[4:5], off offset:728
	global_load_dwordx4 v[72:75], v[4:5], off offset:712
	global_load_dwordx4 v[76:79], v[4:5], off offset:696
	s_waitcnt vmcnt(2)
	buffer_store_dword v9, off, s[24:27], 0 offset:332 ; 4-byte Folded Spill
	s_nop 0
	buffer_store_dword v10, off, s[24:27], 0 offset:336 ; 4-byte Folded Spill
	s_waitcnt vmcnt(2) lgkmcnt(2)
	v_mul_f32_e32 v4, v145, v77
	v_fma_f32 v30, v144, v76, -v4
	v_mul_f32_e32 v4, v91, v79
	v_mul_f32_e32 v177, v144, v77
	v_fma_f32 v144, v90, v78, -v4
	s_waitcnt lgkmcnt(1)
	v_mul_f32_e32 v4, v149, v73
	v_fma_f32 v178, v148, v72, -v4
	v_mul_f32_e32 v148, v148, v73
	v_mul_f32_e32 v4, v143, v75
	v_fmac_f32_e32 v148, v149, v72
	v_fma_f32 v149, v142, v74, -v4
	v_mul_f32_e32 v142, v142, v75
	v_fmac_f32_e32 v142, v143, v74
	v_fmac_f32_e32 v177, v145, v76
	v_mul_f32_e32 v145, v90, v79
	v_fmac_f32_e32 v145, v91, v78
	s_waitcnt lgkmcnt(0)
	v_mul_f32_e32 v4, v153, v10
	v_fma_f32 v143, v152, v9, -v4
	v_mul_u32_u24_sdwa v4, v31, s8 dst_sel:DWORD dst_unused:UNUSED_PAD src0_sel:WORD_0 src1_sel:DWORD
	v_lshrrev_b32_e32 v18, 20, v4
	v_mul_lo_u16_e32 v4, 0x5a, v18
	v_sub_u16_e32 v19, v31, v4
	v_mul_lo_u16_e32 v4, 40, v19
	v_add_co_u32_e32 v4, vcc, s10, v4
	v_mul_f32_e32 v179, v152, v10
	v_addc_co_u32_e32 v5, vcc, 0, v0, vcc
	v_fmac_f32_e32 v179, v153, v9
	global_load_dwordx2 v[9:10], v[4:5], off offset:728
	global_load_dwordx4 v[80:83], v[4:5], off offset:712
	global_load_dwordx4 v[88:91], v[4:5], off offset:696
	s_waitcnt vmcnt(2)
	buffer_store_dword v9, off, s[24:27], 0 offset:484 ; 4-byte Folded Spill
	s_nop 0
	buffer_store_dword v10, off, s[24:27], 0 offset:488 ; 4-byte Folded Spill
	v_add_f32_e32 v4, v32, v131
	s_waitcnt vmcnt(2)
	v_mul_f32_e32 v0, v147, v89
	v_fma_f32 v31, v146, v88, -v0
	v_mul_f32_e32 v0, v8, v91
	v_mul_f32_e32 v182, v7, v91
	v_fma_f32 v4, -0.5, v4, v136
	v_fma_f32 v181, v7, v90, -v0
	v_fmac_f32_e32 v182, v8, v90
	v_mul_f32_e32 v0, v151, v81
	v_sub_f32_e32 v5, v34, v11
	v_mov_b32_e32 v8, v4
	v_fma_f32 v183, v150, v80, -v0
	v_mul_f32_e32 v0, v16, v83
	v_fmac_f32_e32 v8, 0x3f5db3d7, v5
	v_fmac_f32_e32 v4, 0xbf5db3d7, v5
	v_add_f32_e32 v5, v137, v34
	v_fma_f32 v185, v15, v82, -v0
	v_add_f32_e32 v5, v5, v11
	v_fma_f32 v11, -0.5, v6, v137
	v_sub_f32_e32 v6, v32, v131
	v_mul_f32_e32 v186, v15, v83
	v_mul_f32_e32 v180, v146, v89
	v_fmac_f32_e32 v180, v147, v88
	v_mul_f32_e32 v184, v150, v81
	v_fmac_f32_e32 v186, v16, v82
	s_movk_i32 s8, 0x59
	v_cmp_lt_u16_e32 vcc, s8, v33
	s_waitcnt vmcnt(0)
	s_barrier
	v_fmac_f32_e32 v184, v151, v80
	buffer_store_dword v33, off, s[24:27], 0 offset:388 ; 4-byte Folded Spill
	v_mul_f32_e32 v0, v155, v10
	v_mul_f32_e32 v188, v154, v10
	v_fma_f32 v187, v154, v9, -v0
	v_fmac_f32_e32 v188, v155, v9
	v_mov_b32_e32 v9, v11
	v_fmac_f32_e32 v9, 0xbf5db3d7, v6
	v_fmac_f32_e32 v11, 0x3f5db3d7, v6
	v_add_f32_e32 v6, v1, v3
	v_add_f32_e32 v10, v6, v12
	v_add_f32_e32 v6, v3, v12
	v_fmac_f32_e32 v1, -0.5, v6
	v_sub_f32_e32 v6, v130, v17
	v_mov_b32_e32 v7, v1
	v_fmac_f32_e32 v7, 0x3f5db3d7, v6
	v_fmac_f32_e32 v1, 0xbf5db3d7, v6
	v_add_f32_e32 v6, v2, v130
	v_add_f32_e32 v15, v6, v17
	;; [unrolled: 1-line block ×3, first 2 shown]
	v_fmac_f32_e32 v2, -0.5, v6
	v_add_f32_e32 v0, v136, v32
	v_sub_f32_e32 v3, v3, v12
	v_mov_b32_e32 v14, v2
	v_add_f32_e32 v0, v0, v131
	v_fmac_f32_e32 v14, 0xbf5db3d7, v3
	v_fmac_f32_e32 v2, 0x3f5db3d7, v3
	v_mul_f32_e32 v32, -0.5, v1
	v_mul_f32_e32 v34, 0xbf5db3d7, v7
	v_add_f32_e32 v12, v0, v10
	v_mul_f32_e32 v3, 0x3f5db3d7, v14
	v_fmac_f32_e32 v32, 0x3f5db3d7, v2
	v_fmac_f32_e32 v34, 0.5, v14
	v_sub_f32_e32 v14, v0, v10
	v_add_f32_e32 v0, v138, v156
	v_add_f32_e32 v6, v4, v32
	v_sub_f32_e32 v10, v4, v32
	v_add_f32_e32 v32, v0, v160
	v_add_f32_e32 v0, v156, v160
	v_add_f32_e32 v17, v9, v34
	v_sub_f32_e32 v9, v9, v34
	v_fma_f32 v34, -0.5, v0, v138
	v_sub_f32_e32 v0, v157, v161
	v_mov_b32_e32 v130, v34
	v_fmac_f32_e32 v130, 0x3f5db3d7, v0
	v_fmac_f32_e32 v34, 0xbf5db3d7, v0
	v_add_f32_e32 v0, v139, v157
	v_add_f32_e32 v131, v0, v161
	;; [unrolled: 1-line block ×3, first 2 shown]
	v_fmac_f32_e32 v139, -0.5, v0
	v_sub_f32_e32 v0, v156, v160
	v_mov_b32_e32 v136, v139
	v_fmac_f32_e32 v136, 0xbf5db3d7, v0
	v_fmac_f32_e32 v139, 0x3f5db3d7, v0
	v_add_f32_e32 v0, v27, v158
	v_add_f32_e32 v137, v0, v162
	;; [unrolled: 1-line block ×3, first 2 shown]
	v_mul_f32_e32 v2, -0.5, v2
	v_fmac_f32_e32 v27, -0.5, v0
	v_fmac_f32_e32 v2, 0xbf5db3d7, v1
	v_sub_f32_e32 v0, v159, v163
	v_mov_b32_e32 v1, v27
	v_fmac_f32_e32 v1, 0x3f5db3d7, v0
	v_fmac_f32_e32 v27, 0xbf5db3d7, v0
	v_add_f32_e32 v0, v29, v159
	v_add_f32_e32 v138, v0, v163
	;; [unrolled: 1-line block ×3, first 2 shown]
	v_fmac_f32_e32 v29, -0.5, v0
	v_sub_f32_e32 v0, v158, v162
	v_add_f32_e32 v13, v5, v15
	v_sub_f32_e32 v15, v5, v15
	v_mov_b32_e32 v5, v29
	v_fmac_f32_e32 v29, 0x3f5db3d7, v0
	v_mul_f32_e32 v147, -0.5, v27
	v_fmac_f32_e32 v5, 0xbf5db3d7, v0
	v_fmac_f32_e32 v147, 0x3f5db3d7, v29
	v_mul_f32_e32 v29, -0.5, v29
	v_mul_f32_e32 v146, 0x3f5db3d7, v5
	v_fmac_f32_e32 v29, 0xbf5db3d7, v27
	v_fmac_f32_e32 v146, 0.5, v1
	v_mul_f32_e32 v150, 0xbf5db3d7, v1
	v_add_f32_e32 v1, v139, v29
	v_sub_f32_e32 v167, v139, v29
	v_add_f32_e32 v29, v171, v175
	v_add_f32_e32 v4, v130, v146
	v_sub_f32_e32 v164, v130, v146
	v_fma_f32 v29, -0.5, v29, v132
	v_add_f32_e32 v130, v172, v140
	v_fmac_f32_e32 v3, 0.5, v7
	v_add_f32_e32 v7, v11, v2
	v_sub_f32_e32 v11, v11, v2
	v_add_f32_e32 v2, v32, v137
	v_add_f32_e32 v0, v34, v147
	v_sub_f32_e32 v168, v32, v137
	v_sub_f32_e32 v166, v34, v147
	;; [unrolled: 1-line block ×3, first 2 shown]
	v_mov_b32_e32 v34, v29
	v_fma_f32 v130, -0.5, v130, v133
	v_add_f32_e32 v16, v8, v3
	v_sub_f32_e32 v8, v8, v3
	v_add_f32_e32 v3, v131, v138
	v_sub_f32_e32 v169, v131, v138
	v_add_f32_e32 v27, v132, v171
	v_fmac_f32_e32 v34, 0x3f5db3d7, v32
	v_fmac_f32_e32 v29, 0xbf5db3d7, v32
	v_add_f32_e32 v32, v133, v172
	v_sub_f32_e32 v131, v171, v175
	v_mov_b32_e32 v132, v130
	v_add_f32_e32 v133, v173, v141
	v_fmac_f32_e32 v150, 0.5, v5
	v_fmac_f32_e32 v132, 0xbf5db3d7, v131
	v_fmac_f32_e32 v130, 0x3f5db3d7, v131
	v_add_f32_e32 v131, v28, v173
	v_fmac_f32_e32 v28, -0.5, v133
	v_add_f32_e32 v5, v136, v150
	v_sub_f32_e32 v165, v136, v150
	v_sub_f32_e32 v133, v174, v176
	v_mov_b32_e32 v136, v28
	v_add_f32_e32 v137, v174, v176
	v_fmac_f32_e32 v136, 0x3f5db3d7, v133
	v_fmac_f32_e32 v28, 0xbf5db3d7, v133
	v_add_f32_e32 v133, v170, v174
	v_fmac_f32_e32 v170, -0.5, v137
	v_sub_f32_e32 v137, v173, v141
	v_mov_b32_e32 v138, v170
	v_fmac_f32_e32 v138, 0xbf5db3d7, v137
	v_fmac_f32_e32 v170, 0x3f5db3d7, v137
	v_mul_f32_e32 v137, 0x3f5db3d7, v138
	v_fmac_f32_e32 v137, 0.5, v136
	v_mul_f32_e32 v136, 0xbf5db3d7, v136
	v_fmac_f32_e32 v136, 0.5, v138
	v_mul_f32_e32 v138, -0.5, v170
	v_mul_f32_e32 v139, -0.5, v28
	v_fmac_f32_e32 v138, 0xbf5db3d7, v28
	v_add_f32_e32 v28, v144, v149
	v_add_f32_e32 v32, v32, v140
	;; [unrolled: 1-line block ×3, first 2 shown]
	v_fmac_f32_e32 v139, 0x3f5db3d7, v170
	v_fma_f32 v28, -0.5, v28, v134
	v_add_f32_e32 v162, v34, v137
	v_add_f32_e32 v156, v29, v139
	;; [unrolled: 1-line block ×3, first 2 shown]
	v_sub_f32_e32 v152, v34, v137
	v_sub_f32_e32 v154, v29, v139
	;; [unrolled: 1-line block ×4, first 2 shown]
	v_mov_b32_e32 v32, v28
	v_add_f32_e32 v34, v145, v142
	v_add_f32_e32 v27, v27, v175
	;; [unrolled: 1-line block ×3, first 2 shown]
	v_fmac_f32_e32 v32, 0x3f5db3d7, v29
	v_fmac_f32_e32 v28, 0xbf5db3d7, v29
	v_add_f32_e32 v29, v135, v145
	v_fmac_f32_e32 v135, -0.5, v34
	v_add_f32_e32 v160, v27, v131
	v_add_f32_e32 v157, v130, v138
	v_sub_f32_e32 v158, v27, v131
	v_sub_f32_e32 v155, v130, v138
	;; [unrolled: 1-line block ×3, first 2 shown]
	v_mov_b32_e32 v130, v135
	v_add_f32_e32 v131, v178, v143
	v_fmac_f32_e32 v130, 0xbf5db3d7, v34
	v_fmac_f32_e32 v135, 0x3f5db3d7, v34
	v_add_f32_e32 v34, v30, v178
	v_fmac_f32_e32 v30, -0.5, v131
	v_add_f32_e32 v163, v132, v136
	v_sub_f32_e32 v153, v132, v136
	v_sub_f32_e32 v131, v148, v179
	v_mov_b32_e32 v132, v30
	v_add_f32_e32 v133, v148, v179
	v_fmac_f32_e32 v132, 0x3f5db3d7, v131
	v_fmac_f32_e32 v30, 0xbf5db3d7, v131
	v_add_f32_e32 v131, v177, v148
	v_fmac_f32_e32 v177, -0.5, v133
	v_add_f32_e32 v27, v134, v144
	v_sub_f32_e32 v133, v178, v143
	v_mov_b32_e32 v134, v177
	v_fmac_f32_e32 v134, 0xbf5db3d7, v133
	v_fmac_f32_e32 v177, 0x3f5db3d7, v133
	v_mul_f32_e32 v136, -0.5, v30
	v_mul_f32_e32 v133, 0x3f5db3d7, v134
	v_fmac_f32_e32 v136, 0x3f5db3d7, v177
	v_add_f32_e32 v29, v29, v142
	v_fmac_f32_e32 v133, 0.5, v132
	v_add_f32_e32 v144, v28, v136
	v_mul_f32_e32 v132, 0xbf5db3d7, v132
	v_sub_f32_e32 v142, v28, v136
	v_add_f32_e32 v28, v181, v185
	v_add_f32_e32 v131, v131, v179
	v_fmac_f32_e32 v132, 0.5, v134
	v_mul_f32_e32 v134, -0.5, v177
	v_fma_f32 v28, -0.5, v28, v128
	v_add_f32_e32 v27, v27, v149
	v_add_f32_e32 v150, v32, v133
	;; [unrolled: 1-line block ×3, first 2 shown]
	v_fmac_f32_e32 v134, 0xbf5db3d7, v30
	v_sub_f32_e32 v140, v32, v133
	v_sub_f32_e32 v147, v29, v131
	v_sub_f32_e32 v29, v182, v186
	v_mov_b32_e32 v30, v28
	v_add_f32_e32 v32, v182, v186
	v_add_f32_e32 v34, v34, v143
	v_fmac_f32_e32 v30, 0x3f5db3d7, v29
	v_fmac_f32_e32 v28, 0xbf5db3d7, v29
	v_add_f32_e32 v29, v129, v182
	v_fmac_f32_e32 v129, -0.5, v32
	v_add_f32_e32 v148, v27, v34
	v_sub_f32_e32 v146, v27, v34
	v_sub_f32_e32 v32, v181, v185
	v_mov_b32_e32 v34, v129
	v_add_f32_e32 v27, v128, v181
	v_fmac_f32_e32 v34, 0xbf5db3d7, v32
	v_fmac_f32_e32 v129, 0x3f5db3d7, v32
	v_add_f32_e32 v32, v31, v183
	v_add_f32_e32 v27, v27, v185
	v_add_f32_e32 v32, v32, v187
	v_add_f32_e32 v145, v135, v134
	v_sub_f32_e32 v143, v135, v134
	v_add_f32_e32 v136, v27, v32
	v_sub_f32_e32 v134, v27, v32
	v_mov_b32_e32 v27, 0x21c
	v_cndmask_b32_e32 v27, 0, v27, vcc
	v_add_lshl_u32 v26, v26, v27, 3
	ds_write2_b64 v26, v[12:13], v[16:17] offset1:90
	v_add_u32_e32 v12, 0x400, v26
	ds_write2_b64 v12, v[6:7], v[14:15] offset0:52 offset1:142
	v_add_u32_e32 v6, 0x800, v26
	buffer_store_dword v6, off, s[24:27], 0 offset:396 ; 4-byte Folded Spill
	ds_write2_b64 v6, v[8:9], v[10:11] offset0:104 offset1:194
	v_mul_u32_u24_e32 v6, 0x21c, v24
	v_add_lshl_u32 v6, v6, v25, 3
	v_add_f32_e32 v128, v183, v187
	ds_write2_b64 v6, v[2:3], v[4:5] offset1:90
	v_add_u32_e32 v2, 0x400, v6
	v_fmac_f32_e32 v31, -0.5, v128
	ds_write2_b64 v2, v[0:1], v[168:169] offset0:52 offset1:142
	v_add_u32_e32 v0, 0x800, v6
	v_add_f32_e32 v151, v130, v132
	v_sub_f32_e32 v141, v130, v132
	v_sub_f32_e32 v128, v184, v188
	v_mov_b32_e32 v130, v31
	buffer_store_dword v0, off, s[24:27], 0 offset:408 ; 4-byte Folded Spill
	ds_write2_b64 v0, v[164:165], v[166:167] offset0:104 offset1:194
	v_mad_legacy_u16 v0, v22, s7, v23
	v_fmac_f32_e32 v130, 0x3f5db3d7, v128
	v_fmac_f32_e32 v31, 0xbf5db3d7, v128
	v_add_f32_e32 v128, v180, v184
	v_lshlrev_b32_e32 v0, 3, v0
	v_add_f32_e32 v131, v128, v188
	v_add_f32_e32 v128, v184, v188
	v_add_u32_e32 v1, 0x400, v0
	v_fmac_f32_e32 v180, -0.5, v128
	ds_write2_b64 v0, v[160:161], v[162:163] offset1:90
	buffer_store_dword v0, off, s[24:27], 0 offset:424 ; 4-byte Folded Spill
	buffer_store_dword v1, off, s[24:27], 0 offset:416 ; 4-byte Folded Spill
	ds_write2_b64 v1, v[156:157], v[158:159] offset0:52 offset1:142
	v_add_u32_e32 v1, 0x800, v0
	v_mad_legacy_u16 v0, v20, s7, v21
	v_sub_f32_e32 v128, v183, v187
	v_mov_b32_e32 v133, v180
	v_lshlrev_b32_e32 v0, 3, v0
	v_fmac_f32_e32 v133, 0xbf5db3d7, v128
	v_fmac_f32_e32 v180, 0x3f5db3d7, v128
	buffer_store_dword v1, off, s[24:27], 0 offset:420 ; 4-byte Folded Spill
	ds_write2_b64 v1, v[152:153], v[154:155] offset0:104 offset1:194
	v_add_u32_e32 v1, 0x400, v0
	v_mad_u64_u32 v[166:167], s[8:9], v33, 40, s[10:11]
	v_mul_f32_e32 v128, 0x3f5db3d7, v133
	v_mul_f32_e32 v135, -0.5, v31
	v_mul_f32_e32 v170, 0xbf5db3d7, v130
	v_mul_f32_e32 v171, -0.5, v180
	ds_write2_b64 v0, v[148:149], v[150:151] offset1:90
	buffer_store_dword v0, off, s[24:27], 0 offset:436 ; 4-byte Folded Spill
	buffer_store_dword v1, off, s[24:27], 0 offset:428 ; 4-byte Folded Spill
	ds_write2_b64 v1, v[144:145], v[146:147] offset0:52 offset1:142
	v_add_u32_e32 v1, 0x800, v0
	v_mad_legacy_u16 v0, v18, s7, v19
	v_add_f32_e32 v29, v29, v186
	v_fmac_f32_e32 v128, 0.5, v130
	v_fmac_f32_e32 v135, 0x3f5db3d7, v180
	v_fmac_f32_e32 v170, 0.5, v133
	v_fmac_f32_e32 v171, 0xbf5db3d7, v31
	v_lshlrev_b32_e32 v0, 3, v0
	v_add_f32_e32 v138, v30, v128
	v_add_f32_e32 v132, v28, v135
	;; [unrolled: 1-line block ×5, first 2 shown]
	v_sub_f32_e32 v130, v30, v128
	v_sub_f32_e32 v128, v28, v135
	;; [unrolled: 1-line block ×3, first 2 shown]
	buffer_store_dword v1, off, s[24:27], 0 offset:432 ; 4-byte Folded Spill
	ds_write2_b64 v1, v[140:141], v[142:143] offset0:104 offset1:194
	v_add_u32_e32 v1, 0x400, v0
	s_movk_i32 s7, 0x10c8
	v_sub_f32_e32 v131, v34, v170
	v_sub_f32_e32 v129, v129, v171
	ds_write2_b64 v0, v[136:137], v[138:139] offset1:90
	buffer_store_dword v0, off, s[24:27], 0 offset:448 ; 4-byte Folded Spill
	buffer_store_dword v1, off, s[24:27], 0 offset:440 ; 4-byte Folded Spill
	ds_write2_b64 v1, v[132:133], v[134:135] offset0:52 offset1:142
	v_add_u32_e32 v1, 0x800, v0
	v_add_co_u32_e32 v0, vcc, s7, v166
	buffer_store_dword v1, off, s[24:27], 0 offset:444 ; 4-byte Folded Spill
	ds_write2_b64 v1, v[130:131], v[128:129] offset0:104 offset1:194
	v_addc_co_u32_e32 v1, vcc, 0, v167, vcc
	buffer_store_dword v2, off, s[24:27], 0 offset:404 ; 4-byte Folded Spill
	v_add_co_u32_e32 v2, vcc, s6, v166
	v_addc_co_u32_e32 v3, vcc, 0, v167, vcc
	buffer_store_dword v26, off, s[24:27], 0 offset:400 ; 4-byte Folded Spill
	buffer_store_dword v12, off, s[24:27], 0 offset:392 ; 4-byte Folded Spill
	;; [unrolled: 1-line block ×3, first 2 shown]
	s_waitcnt vmcnt(0) lgkmcnt(0)
	s_barrier
	ds_read2_b64 v[176:179], v200 offset1:108
	ds_read2_b64 v[168:171], v39 offset0:48 offset1:156
	ds_read2_b64 v[12:15], v41 offset0:56 offset1:164
	;; [unrolled: 1-line block ×14, first 2 shown]
	global_load_dwordx4 v[132:135], v[2:3], off offset:200
	s_nop 0
	global_load_dwordx2 v[2:3], v[0:1], off offset:32
	global_load_dwordx4 v[128:131], v[0:1], off offset:16
	s_waitcnt vmcnt(1)
	buffer_store_dword v2, off, s[24:27], 0 offset:460 ; 4-byte Folded Spill
	s_nop 0
	buffer_store_dword v3, off, s[24:27], 0 offset:464 ; 4-byte Folded Spill
	s_waitcnt lgkmcnt(13)
	v_mul_f32_e32 v0, v171, v133
	v_fma_f32 v5, v170, v132, -v0
	s_waitcnt lgkmcnt(12)
	v_mul_f32_e32 v0, v13, v135
	v_fma_f32 v28, v12, v134, -v0
	s_waitcnt vmcnt(2) lgkmcnt(11)
	v_mul_f32_e32 v0, v195, v129
	v_fma_f32 v33, v194, v128, -v0
	s_waitcnt lgkmcnt(10)
	v_mul_f32_e32 v0, v19, v131
	v_fma_f32 v23, v18, v130, -v0
	s_movk_i32 s6, 0x21a8
	v_mul_f32_e32 v16, v12, v135
	v_fmac_f32_e32 v16, v13, v134
	v_mov_b32_e32 v46, v36
	v_mov_b32_e32 v47, v35
	v_mul_f32_e32 v6, v170, v133
	v_fmac_f32_e32 v6, v171, v132
	v_mul_f32_e32 v18, v18, v131
	v_fmac_f32_e32 v18, v19, v130
	;; [unrolled: 2-line block ×3, first 2 shown]
	v_add_u32_e32 v194, 0x1000, v200
	s_waitcnt lgkmcnt(9)
	v_mul_f32_e32 v0, v187, v3
	v_fma_f32 v29, v186, v2, -v0
	v_add_co_u32_e32 v0, vcc, s6, v166
	v_mul_f32_e32 v10, v186, v3
	v_addc_co_u32_e32 v1, vcc, 0, v167, vcc
	v_fmac_f32_e32 v10, v187, v2
	v_add_co_u32_e32 v2, vcc, s3, v166
	v_addc_co_u32_e32 v3, vcc, 0, v167, vcc
	global_load_dwordx4 v[140:143], v[2:3], off offset:424
	global_load_dwordx2 v[30:31], v[0:1], off offset:32
	global_load_dwordx4 v[136:139], v[0:1], off offset:16
	s_movk_i32 s3, 0x3288
	v_add_co_u32_e32 v13, vcc, s3, v166
	s_waitcnt vmcnt(1)
	buffer_store_dword v30, off, s[24:27], 0 offset:476 ; 4-byte Folded Spill
	s_nop 0
	buffer_store_dword v31, off, s[24:27], 0 offset:480 ; 4-byte Folded Spill
	s_waitcnt lgkmcnt(8)
	v_mul_f32_e32 v0, v25, v141
	v_fma_f32 v2, v24, v140, -v0
	v_mul_f32_e32 v0, v15, v143
	v_mul_f32_e32 v3, v24, v141
	v_fma_f32 v40, v14, v142, -v0
	v_mul_f32_e32 v12, v14, v143
	s_waitcnt vmcnt(2) lgkmcnt(7)
	v_mul_f32_e32 v0, v151, v137
	v_mul_f32_e32 v24, v20, v139
	v_addc_co_u32_e32 v14, vcc, 0, v167, vcc
	v_fma_f32 v41, v150, v136, -v0
	v_mul_f32_e32 v0, v21, v139
	v_fmac_f32_e32 v24, v21, v138
	v_add_co_u32_e32 v21, vcc, s5, v166
	v_mul_f32_e32 v7, v150, v137
	v_addc_co_u32_e32 v22, vcc, 0, v167, vcc
	v_fmac_f32_e32 v7, v151, v136
	global_load_dwordx4 v[148:151], v[21:22], off offset:648
	global_load_dwordx2 v[37:38], v[13:14], off offset:32
	global_load_dwordx4 v[144:147], v[13:14], off offset:16
	s_waitcnt vmcnt(1)
	buffer_store_dword v37, off, s[24:27], 0 offset:492 ; 4-byte Folded Spill
	s_nop 0
	buffer_store_dword v38, off, s[24:27], 0 offset:496 ; 4-byte Folded Spill
	v_fmac_f32_e32 v3, v25, v140
	v_fma_f32 v25, v20, v138, -v0
	s_waitcnt lgkmcnt(6)
	v_mul_f32_e32 v0, v155, v31
	v_fma_f32 v36, v154, v30, -v0
	v_mul_f32_e32 v0, v27, v149
	s_movk_i32 s3, 0x4368
	v_fmac_f32_e32 v12, v15, v142
	v_fma_f32 v14, v26, v148, -v0
	v_mul_f32_e32 v15, v26, v149
	s_waitcnt lgkmcnt(4)
	v_mul_f32_e32 v0, v159, v151
	v_add_co_u32_e32 v26, vcc, s3, v166
	v_fmac_f32_e32 v15, v27, v148
	v_fma_f32 v35, v158, v150, -v0
	s_waitcnt vmcnt(2)
	v_mul_f32_e32 v0, v153, v145
	v_addc_co_u32_e32 v27, vcc, 0, v167, vcc
	v_mul_f32_e32 v20, v154, v31
	v_fma_f32 v22, v152, v144, -v0
	v_mul_f32_e32 v31, v152, v145
	s_waitcnt lgkmcnt(3)
	v_mul_f32_e32 v0, v163, v147
	v_add_co_u32_e32 v152, vcc, s2, v166
	v_fmac_f32_e32 v20, v155, v30
	v_mul_f32_e32 v30, v158, v151
	v_fmac_f32_e32 v31, v153, v144
	v_fma_f32 v171, v162, v146, -v0
	v_addc_co_u32_e32 v153, vcc, 0, v167, vcc
	v_fmac_f32_e32 v30, v159, v150
	s_movk_i32 s2, 0x5448
	v_mul_f32_e32 v13, v162, v147
	v_fmac_f32_e32 v13, v163, v146
	s_mul_hi_u32 s6, s0, 0xffffbfe0
	s_sub_i32 s6, s6, s0
	v_mul_f32_e32 v0, v157, v38
	v_mul_f32_e32 v4, v156, v38
	v_fma_f32 v170, v156, v37, -v0
	v_fmac_f32_e32 v4, v157, v37
	global_load_dwordx4 v[156:159], v[152:153], off offset:872
	global_load_dwordx2 v[37:38], v[26:27], off offset:32
	s_nop 0
	global_load_dwordx4 v[152:155], v[26:27], off offset:16
	v_add_co_u32_e32 v26, vcc, s2, v166
	v_addc_co_u32_e32 v27, vcc, 0, v167, vcc
	s_waitcnt vmcnt(1)
	buffer_store_dword v37, off, s[24:27], 0 offset:500 ; 4-byte Folded Spill
	s_nop 0
	buffer_store_dword v38, off, s[24:27], 0 offset:504 ; 4-byte Folded Spill
	s_waitcnt lgkmcnt(2)
	v_mul_f32_e32 v19, v197, v157
	v_fma_f32 v186, v196, v156, -v19
	v_mul_f32_e32 v19, v161, v159
	v_fma_f32 v32, v160, v158, -v19
	v_mul_f32_e32 v34, v160, v159
	s_waitcnt vmcnt(2) lgkmcnt(1)
	v_mul_f32_e32 v19, v189, v153
	v_add_co_u32_e32 v160, vcc, s4, v166
	v_mul_f32_e32 v187, v196, v157
	v_fmac_f32_e32 v34, v161, v158
	v_fma_f32 v196, v188, v152, -v19
	v_mul_f32_e32 v19, v165, v155
	v_mul_f32_e32 v1, v164, v155
	v_addc_co_u32_e32 v161, vcc, 0, v167, vcc
	v_fma_f32 v17, v164, v154, -v19
	v_fmac_f32_e32 v1, v165, v154
	global_load_dwordx4 v[164:167], v[160:161], off offset:1096
	global_load_dwordx2 v[44:45], v[26:27], off offset:32
	s_nop 0
	global_load_dwordx4 v[160:163], v[26:27], off offset:16
	s_waitcnt vmcnt(1)
	buffer_store_dword v44, off, s[24:27], 0 offset:508 ; 4-byte Folded Spill
	s_nop 0
	buffer_store_dword v45, off, s[24:27], 0 offset:512 ; 4-byte Folded Spill
	s_waitcnt lgkmcnt(0)
	v_mul_f32_e32 v19, v181, v38
	v_fma_f32 v21, v180, v37, -v19
	v_mul_f32_e32 v19, v199, v165
	v_fma_f32 v0, v198, v164, -v19
	v_mul_f32_e32 v19, v193, v167
	v_mul_f32_e32 v203, v180, v38
	v_fma_f32 v38, v192, v166, -v19
	s_waitcnt vmcnt(2)
	v_mul_f32_e32 v19, v191, v161
	v_fma_f32 v11, v190, v160, -v19
	v_mul_f32_e32 v19, v185, v163
	v_fma_f32 v9, v184, v162, -v19
	v_mul_f32_e32 v39, v192, v167
	v_fmac_f32_e32 v203, v181, v37
	v_fmac_f32_e32 v39, v193, v166
	v_mul_f32_e32 v37, v198, v165
	v_mul_f32_e32 v43, v190, v161
	v_fmac_f32_e32 v37, v199, v164
	v_fmac_f32_e32 v43, v191, v160
	v_mul_f32_e32 v42, v184, v163
	v_fmac_f32_e32 v42, v185, v162
	v_fmac_f32_e32 v187, v197, v156
	v_mul_f32_e32 v197, v188, v153
	v_fmac_f32_e32 v197, v189, v152
	v_add_u32_e32 v188, 0x400, v200
	v_add_u32_e32 v189, 0x2800, v200
	s_movk_i32 s2, 0x6540
	v_mul_f32_e32 v19, v183, v45
	v_fma_f32 v192, v182, v44, -v19
	v_add_f32_e32 v19, v176, v28
	v_add_f32_e32 v180, v19, v23
	;; [unrolled: 1-line block ×3, first 2 shown]
	v_fma_f32 v176, -0.5, v19, v176
	v_sub_f32_e32 v19, v16, v18
	v_mov_b32_e32 v181, v176
	v_fmac_f32_e32 v181, 0x3f5db3d7, v19
	v_fmac_f32_e32 v176, 0xbf5db3d7, v19
	v_add_f32_e32 v19, v177, v16
	v_add_f32_e32 v16, v16, v18
	v_fma_f32 v16, -0.5, v16, v177
	v_mul_f32_e32 v193, v182, v45
	v_add_f32_e32 v182, v19, v18
	v_sub_f32_e32 v18, v28, v23
	v_mov_b32_e32 v23, v16
	v_fmac_f32_e32 v23, 0xbf5db3d7, v18
	v_fmac_f32_e32 v16, 0x3f5db3d7, v18
	v_add_f32_e32 v18, v5, v33
	v_add_f32_e32 v28, v18, v29
	;; [unrolled: 1-line block ×3, first 2 shown]
	v_fmac_f32_e32 v5, -0.5, v18
	v_sub_f32_e32 v18, v8, v10
	v_mov_b32_e32 v19, v5
	v_fmac_f32_e32 v19, 0x3f5db3d7, v18
	v_fmac_f32_e32 v5, 0xbf5db3d7, v18
	v_add_f32_e32 v18, v6, v8
	v_add_f32_e32 v8, v8, v10
	v_fmac_f32_e32 v6, -0.5, v8
	v_add_f32_e32 v177, v18, v10
	v_sub_f32_e32 v8, v33, v29
	v_mov_b32_e32 v10, v6
	v_fmac_f32_e32 v10, 0xbf5db3d7, v8
	v_fmac_f32_e32 v6, 0x3f5db3d7, v8
	v_mul_f32_e32 v33, 0xbf5db3d7, v19
	v_mul_f32_e32 v8, 0x3f5db3d7, v10
	v_fmac_f32_e32 v33, 0.5, v10
	v_mul_f32_e32 v10, -0.5, v6
	v_fmac_f32_e32 v10, 0xbf5db3d7, v5
	v_add_f32_e32 v199, v16, v10
	v_sub_f32_e32 v191, v16, v10
	v_add_f32_e32 v10, v40, v25
	v_fma_f32 v10, -0.5, v10, v178
	v_fmac_f32_e32 v8, 0.5, v19
	v_add_f32_e32 v19, v23, v33
	v_sub_f32_e32 v185, v23, v33
	v_sub_f32_e32 v16, v12, v24
	v_mov_b32_e32 v23, v10
	v_fmac_f32_e32 v23, 0x3f5db3d7, v16
	v_fmac_f32_e32 v10, 0xbf5db3d7, v16
	v_add_f32_e32 v16, v179, v12
	v_add_f32_e32 v12, v12, v24
	v_fmac_f32_e32 v179, -0.5, v12
	v_add_f32_e32 v16, v16, v24
	v_sub_f32_e32 v12, v40, v25
	v_mov_b32_e32 v33, v179
	v_add_f32_e32 v24, v41, v36
	v_add_f32_e32 v18, v181, v8
	v_sub_f32_e32 v184, v181, v8
	v_add_f32_e32 v8, v178, v40
	v_fmac_f32_e32 v33, 0xbf5db3d7, v12
	v_fmac_f32_e32 v179, 0x3f5db3d7, v12
	v_add_f32_e32 v12, v2, v41
	v_fmac_f32_e32 v2, -0.5, v24
	v_add_f32_e32 v8, v8, v25
	v_sub_f32_e32 v24, v7, v20
	v_mov_b32_e32 v25, v2
	v_mul_f32_e32 v29, -0.5, v5
	v_fmac_f32_e32 v25, 0x3f5db3d7, v24
	v_fmac_f32_e32 v2, 0xbf5db3d7, v24
	v_add_f32_e32 v24, v3, v7
	v_add_f32_e32 v7, v7, v20
	v_fmac_f32_e32 v29, 0x3f5db3d7, v6
	v_fmac_f32_e32 v3, -0.5, v7
	v_add_f32_e32 v198, v176, v29
	v_sub_f32_e32 v190, v176, v29
	v_add_f32_e32 v29, v24, v20
	v_sub_f32_e32 v7, v41, v36
	v_mov_b32_e32 v20, v3
	v_fmac_f32_e32 v20, 0xbf5db3d7, v7
	v_fmac_f32_e32 v3, 0x3f5db3d7, v7
	v_mul_f32_e32 v41, 0xbf5db3d7, v25
	v_add_f32_e32 v12, v12, v36
	v_mul_f32_e32 v7, 0x3f5db3d7, v20
	v_fmac_f32_e32 v41, 0.5, v20
	v_mul_f32_e32 v20, -0.5, v3
	v_add_f32_e32 v26, v180, v28
	v_sub_f32_e32 v5, v180, v28
	v_add_f32_e32 v176, v8, v12
	v_mul_f32_e32 v36, -0.5, v2
	v_fmac_f32_e32 v20, 0xbf5db3d7, v2
	v_sub_f32_e32 v28, v8, v12
	v_add_f32_e32 v12, v30, v13
	v_fmac_f32_e32 v7, 0.5, v25
	v_fmac_f32_e32 v36, 0x3f5db3d7, v3
	v_add_f32_e32 v25, v33, v41
	v_add_f32_e32 v181, v179, v20
	v_sub_f32_e32 v3, v33, v41
	v_sub_f32_e32 v41, v179, v20
	v_fma_f32 v20, -0.5, v12, v173
	v_add_f32_e32 v24, v23, v7
	v_sub_f32_e32 v2, v23, v7
	v_add_f32_e32 v8, v35, v171
	v_sub_f32_e32 v12, v35, v171
	v_mov_b32_e32 v23, v20
	v_fma_f32 v8, -0.5, v8, v172
	v_fmac_f32_e32 v23, 0xbf5db3d7, v12
	v_fmac_f32_e32 v20, 0x3f5db3d7, v12
	v_add_f32_e32 v12, v14, v22
	v_add_f32_e32 v27, v182, v177
	v_sub_f32_e32 v6, v182, v177
	v_add_f32_e32 v180, v10, v36
	v_add_f32_e32 v177, v16, v29
	v_sub_f32_e32 v40, v10, v36
	v_sub_f32_e32 v29, v16, v29
	;; [unrolled: 1-line block ×3, first 2 shown]
	v_mov_b32_e32 v16, v8
	v_add_f32_e32 v33, v12, v170
	v_add_f32_e32 v12, v22, v170
	v_fmac_f32_e32 v16, 0x3f5db3d7, v10
	v_fmac_f32_e32 v8, 0xbf5db3d7, v10
	v_add_f32_e32 v10, v173, v30
	v_fmac_f32_e32 v14, -0.5, v12
	v_add_f32_e32 v10, v10, v13
	v_sub_f32_e32 v12, v31, v4
	v_mov_b32_e32 v13, v14
	v_fmac_f32_e32 v13, 0x3f5db3d7, v12
	v_fmac_f32_e32 v14, 0xbf5db3d7, v12
	v_add_f32_e32 v12, v15, v31
	v_add_f32_e32 v7, v172, v35
	;; [unrolled: 1-line block ×4, first 2 shown]
	v_fmac_f32_e32 v15, -0.5, v4
	v_sub_f32_e32 v4, v22, v170
	v_mov_b32_e32 v22, v15
	v_fmac_f32_e32 v15, 0x3f5db3d7, v4
	v_add_f32_e32 v7, v7, v171
	v_mul_f32_e32 v171, -0.5, v15
	v_add_f32_e32 v30, v7, v33
	v_mul_f32_e32 v36, -0.5, v14
	v_fmac_f32_e32 v171, 0xbf5db3d7, v14
	v_sub_f32_e32 v14, v7, v33
	v_add_f32_e32 v7, v32, v17
	v_fmac_f32_e32 v22, 0xbf5db3d7, v4
	v_fmac_f32_e32 v36, 0x3f5db3d7, v15
	v_mul_f32_e32 v170, 0xbf5db3d7, v13
	v_fma_f32 v7, -0.5, v7, v174
	v_mul_f32_e32 v4, 0x3f5db3d7, v22
	v_add_f32_e32 v182, v8, v36
	v_add_f32_e32 v31, v10, v35
	v_fmac_f32_e32 v170, 0.5, v22
	v_sub_f32_e32 v22, v8, v36
	v_sub_f32_e32 v15, v10, v35
	;; [unrolled: 1-line block ×3, first 2 shown]
	v_mov_b32_e32 v10, v7
	v_fmac_f32_e32 v10, 0x3f5db3d7, v8
	v_fmac_f32_e32 v7, 0xbf5db3d7, v8
	v_add_f32_e32 v8, v175, v34
	v_add_f32_e32 v8, v8, v1
	;; [unrolled: 1-line block ×3, first 2 shown]
	v_fmac_f32_e32 v4, 0.5, v13
	v_fmac_f32_e32 v175, -0.5, v1
	v_add_f32_e32 v12, v16, v4
	v_sub_f32_e32 v178, v16, v4
	v_add_f32_e32 v4, v174, v32
	v_sub_f32_e32 v1, v32, v17
	v_mov_b32_e32 v32, v175
	v_add_f32_e32 v16, v196, v21
	v_fmac_f32_e32 v32, 0xbf5db3d7, v1
	v_fmac_f32_e32 v175, 0x3f5db3d7, v1
	v_add_f32_e32 v1, v186, v196
	v_fmac_f32_e32 v186, -0.5, v16
	v_add_f32_e32 v4, v4, v17
	v_sub_f32_e32 v16, v197, v203
	v_mov_b32_e32 v17, v186
	v_fmac_f32_e32 v17, 0x3f5db3d7, v16
	v_fmac_f32_e32 v186, 0xbf5db3d7, v16
	v_add_f32_e32 v16, v187, v197
	v_add_f32_e32 v33, v16, v203
	;; [unrolled: 1-line block ×3, first 2 shown]
	v_fmac_f32_e32 v187, -0.5, v16
	v_sub_f32_e32 v16, v196, v21
	v_mov_b32_e32 v34, v187
	v_add_f32_e32 v1, v1, v21
	v_fmac_f32_e32 v34, 0xbf5db3d7, v16
	v_fmac_f32_e32 v193, v183, v44
	v_add_f32_e32 v13, v23, v170
	v_add_f32_e32 v183, v20, v171
	v_sub_f32_e32 v179, v23, v170
	v_sub_f32_e32 v23, v20, v171
	v_fmac_f32_e32 v187, 0x3f5db3d7, v16
	v_add_f32_e32 v20, v4, v1
	v_mul_f32_e32 v35, 0x3f5db3d7, v34
	v_mul_f32_e32 v172, 0xbf5db3d7, v17
	v_sub_f32_e32 v196, v4, v1
	v_add_f32_e32 v4, v38, v9
	v_fmac_f32_e32 v35, 0.5, v17
	v_fmac_f32_e32 v172, 0.5, v34
	v_mul_f32_e32 v34, -0.5, v187
	v_fma_f32 v4, -0.5, v4, v168
	v_add_f32_e32 v170, v10, v35
	v_mul_f32_e32 v36, -0.5, v186
	v_add_f32_e32 v21, v8, v33
	v_fmac_f32_e32 v34, 0xbf5db3d7, v186
	v_sub_f32_e32 v186, v10, v35
	v_sub_f32_e32 v197, v8, v33
	;; [unrolled: 1-line block ×3, first 2 shown]
	v_mov_b32_e32 v33, v4
	v_fmac_f32_e32 v36, 0x3f5db3d7, v187
	v_fmac_f32_e32 v33, 0x3f5db3d7, v10
	v_fmac_f32_e32 v4, 0xbf5db3d7, v10
	v_add_f32_e32 v10, v169, v39
	v_add_f32_e32 v16, v7, v36
	v_sub_f32_e32 v7, v7, v36
	v_add_f32_e32 v36, v10, v42
	v_add_f32_e32 v10, v39, v42
	;; [unrolled: 1-line block ×3, first 2 shown]
	v_fmac_f32_e32 v169, -0.5, v10
	v_add_f32_e32 v1, v1, v9
	v_sub_f32_e32 v9, v38, v9
	v_mov_b32_e32 v38, v169
	v_fmac_f32_e32 v38, 0xbf5db3d7, v9
	v_fmac_f32_e32 v169, 0x3f5db3d7, v9
	v_add_f32_e32 v9, v0, v11
	v_add_f32_e32 v171, v32, v172
	v_sub_f32_e32 v187, v32, v172
	v_add_f32_e32 v32, v9, v192
	v_add_f32_e32 v9, v11, v192
	v_fmac_f32_e32 v0, -0.5, v9
	v_sub_f32_e32 v9, v43, v193
	v_mov_b32_e32 v35, v0
	v_fmac_f32_e32 v35, 0x3f5db3d7, v9
	v_fmac_f32_e32 v0, 0xbf5db3d7, v9
	v_add_f32_e32 v9, v37, v43
	v_add_f32_e32 v39, v9, v193
	;; [unrolled: 1-line block ×3, first 2 shown]
	v_fmac_f32_e32 v37, -0.5, v9
	v_sub_f32_e32 v9, v11, v192
	v_mov_b32_e32 v11, v37
	v_fmac_f32_e32 v11, 0xbf5db3d7, v9
	v_add_f32_e32 v17, v175, v34
	v_sub_f32_e32 v8, v175, v34
	v_fmac_f32_e32 v37, 0x3f5db3d7, v9
	v_mul_f32_e32 v42, 0x3f5db3d7, v11
	v_mul_f32_e32 v43, -0.5, v0
	v_mul_f32_e32 v175, 0xbf5db3d7, v35
	v_fmac_f32_e32 v42, 0.5, v35
	v_fmac_f32_e32 v43, 0x3f5db3d7, v37
	v_fmac_f32_e32 v175, 0.5, v11
	v_mul_f32_e32 v11, -0.5, v37
	v_add_u32_e32 v37, 0x3400, v200
	v_add_f32_e32 v9, v1, v32
	v_add_f32_e32 v34, v33, v42
	;; [unrolled: 1-line block ×4, first 2 shown]
	v_fmac_f32_e32 v11, 0xbf5db3d7, v0
	v_sub_f32_e32 v174, v33, v42
	v_sub_f32_e32 v33, v36, v39
	ds_write_b64 v200, v[18:19] offset:4320
	ds_write_b64 v200, v[198:199] offset:8640
	;; [unrolled: 1-line block ×5, first 2 shown]
	ds_write2_b64 v200, v[26:27], v[176:177] offset1:108
	ds_write_b64 v200, v[180:181] offset:9504
	ds_write_b64 v200, v[2:3] offset:18144
	ds_write2_b64 v194, v[24:25], v[12:13] offset0:136 offset1:244
	ds_write2_b64 v37, v[28:29], v[14:15] offset0:64 offset1:172
	v_add_u32_e32 v36, 0x5400, v200
	v_add_u32_e32 v25, 0x4800, v200
	;; [unrolled: 1-line block ×3, first 2 shown]
	v_add_f32_e32 v172, v4, v43
	v_add_f32_e32 v173, v169, v11
	v_sub_f32_e32 v32, v1, v32
	v_sub_f32_e32 v168, v4, v43
	;; [unrolled: 1-line block ×4, first 2 shown]
	ds_write2_b64 v36, v[40:41], v[22:23] offset0:120 offset1:228
	ds_write2_b64 v188, v[30:31], v[20:21] offset0:88 offset1:196
	;; [unrolled: 1-line block ×3, first 2 shown]
	ds_write_b64 v200, v[196:197] offset:15552
	ds_write2_b64 v25, v[178:179], v[186:187] offset0:72 offset1:180
	ds_write_b64 v200, v[7:8] offset:24192
	ds_write_b64 v200, v[9:10] offset:3456
	ds_write2_b64 v28, v[170:171], v[34:35] offset0:96 offset1:204
	ds_write_b64 v200, v[172:173] offset:12096
	ds_write_b64 v200, v[32:33] offset:16416
	;; [unrolled: 1-line block ×4, first 2 shown]
	s_waitcnt vmcnt(0) lgkmcnt(0)
	s_barrier
	ds_read2_b64 v[6:9], v200 offset1:108
	buffer_load_dword v0, off, s[24:27], 0 offset:452 ; 4-byte Folded Reload
	buffer_load_dword v1, off, s[24:27], 0 offset:456 ; 4-byte Folded Reload
	v_add_co_u32_e32 v20, vcc, s2, v202
	v_addc_co_u32_e32 v21, vcc, 0, v201, vcc
	s_mov_b32 s2, 0x8000
	v_add_u32_e32 v38, 0x2000, v200
	v_mov_b32_e32 v40, v25
	v_mov_b32_e32 v33, v36
	;; [unrolled: 1-line block ×7, first 2 shown]
	s_waitcnt vmcnt(0)
	global_load_dwordx2 v[0:1], v[0:1], off offset:1344
	s_waitcnt vmcnt(0) lgkmcnt(0)
	v_mul_f32_e32 v2, v7, v1
	v_fma_f32 v2, v6, v0, -v2
	v_mul_f32_e32 v3, v6, v1
	v_add_co_u32_e32 v6, vcc, s2, v202
	v_fmac_f32_e32 v3, v7, v0
	v_addc_co_u32_e32 v7, vcc, 0, v201, vcc
	global_load_dwordx2 v[0:1], v[6:7], off offset:1792
	ds_write_b64 v200, v[2:3]
	ds_read2_b64 v[10:13], v38 offset0:56 offset1:164
	s_mov_b32 s2, 0xa000
	ds_read2_b64 v[14:17], v231 offset0:112 offset1:220
	s_waitcnt vmcnt(0) lgkmcnt(1)
	v_mul_f32_e32 v2, v11, v1
	v_fma_f32 v4, v10, v0, -v2
	v_add_co_u32_e32 v2, vcc, s2, v202
	v_mul_f32_e32 v5, v10, v1
	v_addc_co_u32_e32 v3, vcc, 0, v201, vcc
	v_fmac_f32_e32 v5, v11, v0
	global_load_dwordx2 v[10:11], v[2:3], off offset:2240
	s_mov_b32 s2, 0x9000
	s_waitcnt vmcnt(0) lgkmcnt(0)
	v_mul_f32_e32 v0, v15, v11
	v_mul_f32_e32 v1, v14, v11
	v_fma_f32 v0, v14, v10, -v0
	v_fmac_f32_e32 v1, v15, v10
	global_load_dwordx2 v[10:11], v[20:21], off offset:864
	s_waitcnt vmcnt(0)
	v_mul_f32_e32 v14, v9, v11
	v_mul_f32_e32 v15, v8, v11
	v_fma_f32 v14, v8, v10, -v14
	v_fmac_f32_e32 v15, v9, v10
	global_load_dwordx2 v[8:9], v[6:7], off offset:2656
	s_waitcnt vmcnt(0)
	v_mul_f32_e32 v10, v13, v9
	v_mul_f32_e32 v19, v12, v9
	v_fma_f32 v18, v12, v8, -v10
	v_fmac_f32_e32 v19, v13, v8
	global_load_dwordx2 v[8:9], v[2:3], off offset:3104
	global_load_dwordx2 v[12:13], v[20:21], off offset:1728
	s_waitcnt vmcnt(1)
	v_mul_f32_e32 v10, v17, v9
	v_mul_f32_e32 v23, v16, v9
	v_fma_f32 v22, v16, v8, -v10
	v_fmac_f32_e32 v23, v17, v8
	ds_read2_b64 v[8:11], v188 offset0:88 offset1:196
	s_waitcnt vmcnt(0) lgkmcnt(0)
	v_mul_f32_e32 v16, v9, v13
	v_mul_f32_e32 v17, v8, v13
	v_fma_f32 v16, v8, v12, -v16
	v_fmac_f32_e32 v17, v9, v12
	global_load_dwordx2 v[8:9], v[6:7], off offset:3520
	ds_write2_b64 v200, v[14:15], v[16:17] offset0:108 offset1:216
	ds_read2_b64 v[12:15], v189 offset0:16 offset1:124
	s_waitcnt vmcnt(0) lgkmcnt(0)
	v_mul_f32_e32 v16, v13, v9
	v_mul_f32_e32 v17, v12, v9
	v_fma_f32 v16, v12, v8, -v16
	v_fmac_f32_e32 v17, v13, v8
	v_add_u32_e32 v8, 0x2400, v200
	ds_write2_b64 v8, v[18:19], v[16:17] offset0:36 offset1:144
	global_load_dwordx2 v[8:9], v[2:3], off offset:3968
	ds_read2_b64 v[16:19], v25 offset0:72 offset1:180
	s_waitcnt vmcnt(0) lgkmcnt(0)
	v_mul_f32_e32 v12, v17, v9
	v_mul_f32_e32 v13, v16, v9
	v_fma_f32 v12, v16, v8, -v12
	v_fmac_f32_e32 v13, v17, v8
	v_add_u32_e32 v8, 0x4400, v200
	ds_write2_b64 v8, v[22:23], v[12:13] offset0:92 offset1:200
	global_load_dwordx2 v[8:9], v[20:21], off offset:2592
	v_add_co_u32_e32 v22, vcc, s2, v202
	v_addc_co_u32_e32 v23, vcc, 0, v201, vcc
	s_mov_b32 s2, 0xb000
	v_add_co_u32_e32 v24, vcc, s2, v202
	v_addc_co_u32_e32 v25, vcc, 0, v201, vcc
	s_movk_i32 s2, 0x7000
	s_waitcnt vmcnt(0)
	v_mul_f32_e32 v12, v11, v9
	v_mul_f32_e32 v13, v10, v9
	v_fma_f32 v12, v10, v8, -v12
	v_fmac_f32_e32 v13, v11, v8
	global_load_dwordx2 v[8:9], v[22:23], off offset:288
	s_waitcnt vmcnt(0)
	v_mul_f32_e32 v10, v15, v9
	v_mul_f32_e32 v17, v14, v9
	v_fma_f32 v16, v14, v8, -v10
	v_fmac_f32_e32 v17, v15, v8
	global_load_dwordx2 v[8:9], v[24:25], off offset:736
	global_load_dwordx2 v[14:15], v[20:21], off offset:3456
	v_add_co_u32_e32 v20, vcc, s2, v202
	v_addc_co_u32_e32 v21, vcc, 0, v201, vcc
	s_mov_b32 s2, 0xc000
	s_waitcnt vmcnt(1)
	v_mul_f32_e32 v10, v19, v9
	v_mul_f32_e32 v27, v18, v9
	v_fma_f32 v26, v18, v8, -v10
	v_fmac_f32_e32 v27, v19, v8
	ds_read2_b64 v[8:11], v230 offset0:48 offset1:156
	v_mov_b32_e32 v230, v38
	s_waitcnt vmcnt(0) lgkmcnt(0)
	v_mul_f32_e32 v18, v9, v15
	v_mul_f32_e32 v19, v8, v15
	v_fma_f32 v18, v8, v14, -v18
	v_fmac_f32_e32 v19, v9, v14
	v_add_u32_e32 v8, 0x800, v200
	ds_write2_b64 v8, v[12:13], v[18:19] offset0:68 offset1:176
	global_load_dwordx2 v[8:9], v[22:23], off offset:1152
	ds_read2_b64 v[12:15], v225 offset0:104 offset1:212
	v_mov_b32_e32 v225, v40
	s_waitcnt vmcnt(0) lgkmcnt(0)
	v_mul_f32_e32 v18, v13, v9
	v_mul_f32_e32 v19, v12, v9
	v_fma_f32 v18, v12, v8, -v18
	v_fmac_f32_e32 v19, v13, v8
	global_load_dwordx2 v[8:9], v[24:25], off offset:1600
	ds_write2_b64 v189, v[16:17], v[18:19] offset0:124 offset1:232
	ds_read2_b64 v[16:19], v224 offset0:32 offset1:140
	s_waitcnt vmcnt(0) lgkmcnt(0)
	v_mul_f32_e32 v12, v17, v9
	v_mul_f32_e32 v13, v16, v9
	v_fma_f32 v12, v16, v8, -v12
	v_fmac_f32_e32 v13, v17, v8
	v_add_u32_e32 v8, 0x4c00, v200
	ds_write2_b64 v8, v[26:27], v[12:13] offset0:52 offset1:160
	global_load_dwordx2 v[8:9], v[20:21], off offset:1568
	s_waitcnt vmcnt(0)
	v_mul_f32_e32 v12, v11, v9
	v_mul_f32_e32 v13, v10, v9
	v_fma_f32 v12, v10, v8, -v12
	v_fmac_f32_e32 v13, v11, v8
	global_load_dwordx2 v[8:9], v[22:23], off offset:2016
	s_waitcnt vmcnt(0)
	v_mul_f32_e32 v10, v15, v9
	v_mul_f32_e32 v17, v14, v9
	v_fma_f32 v16, v14, v8, -v10
	v_fmac_f32_e32 v17, v15, v8
	global_load_dwordx2 v[8:9], v[24:25], off offset:2464
	global_load_dwordx2 v[14:15], v[20:21], off offset:2432
	s_waitcnt vmcnt(1)
	v_mul_f32_e32 v10, v19, v9
	v_mul_f32_e32 v27, v18, v9
	v_fma_f32 v26, v18, v8, -v10
	v_fmac_f32_e32 v27, v19, v8
	ds_read2_b64 v[8:11], v194 offset0:136 offset1:244
	s_waitcnt vmcnt(0) lgkmcnt(0)
	v_mul_f32_e32 v18, v9, v15
	v_mul_f32_e32 v19, v8, v15
	v_fma_f32 v18, v8, v14, -v18
	v_fmac_f32_e32 v19, v9, v14
	global_load_dwordx2 v[8:9], v[22:23], off offset:2880
	ds_write2_b64 v194, v[12:13], v[18:19] offset0:28 offset1:136
	ds_read2_b64 v[12:15], v37 offset0:64 offset1:172
	s_waitcnt vmcnt(0) lgkmcnt(0)
	v_mul_f32_e32 v18, v13, v9
	v_mul_f32_e32 v19, v12, v9
	v_fma_f32 v18, v12, v8, -v18
	v_fmac_f32_e32 v19, v13, v8
	v_add_u32_e32 v8, 0x3000, v200
	ds_write2_b64 v8, v[16:17], v[18:19] offset0:84 offset1:192
	global_load_dwordx2 v[8:9], v[24:25], off offset:3328
	ds_read2_b64 v[16:19], v36 offset0:120 offset1:228
	v_mov_b32_e32 v36, v28
	s_waitcnt vmcnt(0) lgkmcnt(0)
	v_mul_f32_e32 v12, v17, v9
	v_mul_f32_e32 v13, v16, v9
	v_fma_f32 v12, v16, v8, -v12
	v_fmac_f32_e32 v13, v17, v8
	global_load_dwordx2 v[8:9], v[20:21], off offset:3296
	ds_write2_b64 v224, v[26:27], v[12:13] offset0:140 offset1:248
	v_add_co_u32_e32 v20, vcc, s2, v202
	v_addc_co_u32_e32 v21, vcc, 0, v201, vcc
	v_mov_b32_e32 v202, v46
	v_mov_b32_e32 v201, v37
	s_mov_b32 s2, 0x30abee4d
	s_mov_b32 s3, 0x3f343a27
	s_waitcnt vmcnt(0)
	v_mul_f32_e32 v12, v11, v9
	v_mul_f32_e32 v13, v10, v9
	v_fma_f32 v12, v10, v8, -v12
	v_fmac_f32_e32 v13, v11, v8
	global_load_dwordx2 v[8:9], v[22:23], off offset:3744
	s_waitcnt vmcnt(0)
	v_mul_f32_e32 v10, v15, v9
	v_mul_f32_e32 v17, v14, v9
	v_fma_f32 v16, v14, v8, -v10
	v_fmac_f32_e32 v17, v15, v8
	global_load_dwordx2 v[8:9], v[20:21], off offset:96
	global_load_dwordx2 v[14:15], v[6:7], off offset:64
	s_waitcnt vmcnt(1)
	v_mul_f32_e32 v10, v19, v9
	v_mul_f32_e32 v23, v18, v9
	v_fma_f32 v22, v18, v8, -v10
	v_fmac_f32_e32 v23, v19, v8
	ds_read2_b64 v[8:11], v28 offset0:96 offset1:204
	global_load_dwordx2 v[6:7], v[6:7], off offset:928
	s_waitcnt vmcnt(1) lgkmcnt(0)
	v_mul_f32_e32 v18, v9, v15
	v_mul_f32_e32 v19, v8, v15
	v_fma_f32 v18, v8, v14, -v18
	v_fmac_f32_e32 v19, v9, v14
	v_add_u32_e32 v8, 0x1400, v200
	ds_write2_b64 v8, v[12:13], v[18:19] offset0:116 offset1:224
	global_load_dwordx2 v[8:9], v[2:3], off offset:512
	ds_read2_b64 v[12:15], v47 offset0:24 offset1:132
	global_load_dwordx2 v[2:3], v[2:3], off offset:1376
	v_mov_b32_e32 v47, v36
	s_waitcnt vmcnt(1) lgkmcnt(0)
	v_mul_f32_e32 v18, v13, v9
	v_mul_f32_e32 v19, v12, v9
	v_fma_f32 v18, v12, v8, -v18
	v_fmac_f32_e32 v19, v13, v8
	v_add_u32_e32 v8, 0x3800, v200
	ds_write2_b64 v8, v[16:17], v[18:19] offset0:44 offset1:152
	global_load_dwordx2 v[8:9], v[20:21], off offset:960
	ds_read2_b64 v[16:19], v46 offset0:80 offset1:188
	v_mov_b32_e32 v46, v45
	s_waitcnt vmcnt(0) lgkmcnt(0)
	v_mul_f32_e32 v12, v17, v9
	v_mul_f32_e32 v13, v16, v9
	v_fma_f32 v12, v16, v8, -v12
	v_fmac_f32_e32 v13, v17, v8
	v_add_u32_e32 v8, 0x5800, v200
	ds_write2_b64 v8, v[22:23], v[12:13] offset0:100 offset1:208
	v_mul_f32_e32 v8, v11, v7
	v_mul_f32_e32 v9, v10, v7
	v_fma_f32 v8, v10, v6, -v8
	v_fmac_f32_e32 v9, v11, v6
	v_add_u32_e32 v6, 0x1c00, v200
	ds_write2_b64 v6, v[8:9], v[4:5] offset0:76 offset1:184
	v_mul_f32_e32 v4, v15, v3
	v_mul_f32_e32 v5, v14, v3
	v_fma_f32 v4, v14, v2, -v4
	v_fmac_f32_e32 v5, v15, v2
	ds_write2_b64 v231, v[4:5], v[0:1] offset0:4 offset1:112
	global_load_dwordx2 v[0:1], v[20:21], off offset:1824
	s_waitcnt vmcnt(0)
	v_mul_f32_e32 v2, v19, v1
	v_mul_f32_e32 v3, v18, v1
	v_fma_f32 v2, v18, v0, -v2
	v_fmac_f32_e32 v3, v19, v0
	ds_write_b64 v200, v[2:3] offset:25056
	s_waitcnt lgkmcnt(0)
	s_barrier
	ds_read2_b64 v[184:187], v200 offset1:108
	ds_read2_b64 v[0:3], v38 offset0:56 offset1:164
	ds_read2_b64 v[4:7], v231 offset0:112 offset1:220
	;; [unrolled: 1-line block ×11, first 2 shown]
	s_waitcnt lgkmcnt(9)
	v_add_f32_e32 v33, v0, v4
	ds_read2_b64 v[190:193], v32 offset0:24 offset1:132
	v_add_f32_e32 v32, v184, v0
	v_fma_f32 v184, -0.5, v33, v184
	v_sub_f32_e32 v33, v1, v5
	v_mov_b32_e32 v34, v184
	v_fmac_f32_e32 v34, 0xbf5db3d7, v33
	v_fmac_f32_e32 v184, 0x3f5db3d7, v33
	v_add_f32_e32 v33, v185, v1
	v_add_f32_e32 v1, v1, v5
	v_fma_f32 v185, -0.5, v1, v185
	v_sub_f32_e32 v0, v0, v4
	v_mov_b32_e32 v35, v185
	v_add_f32_e32 v1, v2, v6
	v_fmac_f32_e32 v35, 0x3f5db3d7, v0
	v_fmac_f32_e32 v185, 0xbf5db3d7, v0
	v_add_f32_e32 v0, v186, v2
	v_fma_f32 v186, -0.5, v1, v186
	v_add_f32_e32 v32, v32, v4
	v_sub_f32_e32 v1, v3, v7
	v_mov_b32_e32 v4, v186
	v_fmac_f32_e32 v4, 0xbf5db3d7, v1
	v_fmac_f32_e32 v186, 0x3f5db3d7, v1
	v_add_f32_e32 v1, v187, v3
	v_add_f32_e32 v3, v3, v7
	v_fmac_f32_e32 v187, -0.5, v3
	s_waitcnt lgkmcnt(7)
	v_add_f32_e32 v3, v8, v12
	v_add_f32_e32 v33, v33, v5
	;; [unrolled: 1-line block ×4, first 2 shown]
	v_sub_f32_e32 v2, v2, v6
	v_mov_b32_e32 v5, v187
	v_fma_f32 v6, -0.5, v3, v180
	v_add_f32_e32 v7, v9, v13
	v_fmac_f32_e32 v5, 0x3f5db3d7, v2
	v_fmac_f32_e32 v187, 0xbf5db3d7, v2
	v_add_f32_e32 v2, v180, v8
	v_sub_f32_e32 v3, v9, v13
	v_mov_b32_e32 v180, v6
	v_fma_f32 v7, -0.5, v7, v181
	v_fmac_f32_e32 v180, 0xbf5db3d7, v3
	v_fmac_f32_e32 v6, 0x3f5db3d7, v3
	v_add_f32_e32 v3, v181, v9
	v_sub_f32_e32 v8, v8, v12
	v_mov_b32_e32 v181, v7
	v_add_f32_e32 v9, v10, v14
	v_fmac_f32_e32 v181, 0x3f5db3d7, v8
	v_fmac_f32_e32 v7, 0xbf5db3d7, v8
	v_add_f32_e32 v8, v182, v10
	v_fma_f32 v182, -0.5, v9, v182
	v_add_f32_e32 v2, v2, v12
	v_sub_f32_e32 v9, v11, v15
	v_mov_b32_e32 v12, v182
	v_fmac_f32_e32 v12, 0xbf5db3d7, v9
	v_fmac_f32_e32 v182, 0x3f5db3d7, v9
	v_add_f32_e32 v9, v183, v11
	v_add_f32_e32 v11, v11, v15
	v_fmac_f32_e32 v183, -0.5, v11
	s_waitcnt lgkmcnt(4)
	v_add_f32_e32 v11, v16, v20
	v_add_f32_e32 v3, v3, v13
	;; [unrolled: 1-line block ×4, first 2 shown]
	v_sub_f32_e32 v10, v10, v14
	v_mov_b32_e32 v13, v183
	v_fma_f32 v14, -0.5, v11, v176
	v_add_f32_e32 v15, v17, v21
	v_fmac_f32_e32 v13, 0x3f5db3d7, v10
	v_fmac_f32_e32 v183, 0xbf5db3d7, v10
	v_add_f32_e32 v10, v176, v16
	v_sub_f32_e32 v11, v17, v21
	v_mov_b32_e32 v176, v14
	v_fma_f32 v15, -0.5, v15, v177
	v_fmac_f32_e32 v176, 0xbf5db3d7, v11
	v_fmac_f32_e32 v14, 0x3f5db3d7, v11
	v_add_f32_e32 v11, v177, v17
	v_sub_f32_e32 v16, v16, v20
	v_mov_b32_e32 v177, v15
	v_add_f32_e32 v17, v18, v22
	v_fmac_f32_e32 v177, 0x3f5db3d7, v16
	v_fmac_f32_e32 v15, 0xbf5db3d7, v16
	v_add_f32_e32 v16, v178, v18
	v_fma_f32 v178, -0.5, v17, v178
	v_add_f32_e32 v10, v10, v20
	v_sub_f32_e32 v17, v19, v23
	v_mov_b32_e32 v20, v178
	v_fmac_f32_e32 v20, 0xbf5db3d7, v17
	v_fmac_f32_e32 v178, 0x3f5db3d7, v17
	v_add_f32_e32 v17, v179, v19
	v_add_f32_e32 v19, v19, v23
	v_fmac_f32_e32 v179, -0.5, v19
	s_waitcnt lgkmcnt(1)
	v_add_f32_e32 v19, v24, v28
	v_add_f32_e32 v11, v11, v21
	;; [unrolled: 1-line block ×4, first 2 shown]
	v_sub_f32_e32 v18, v18, v22
	v_mov_b32_e32 v21, v179
	v_fma_f32 v22, -0.5, v19, v172
	v_add_f32_e32 v23, v25, v29
	ds_read2_b64 v[196:199], v202 offset0:80 offset1:188
	v_fmac_f32_e32 v21, 0x3f5db3d7, v18
	v_fmac_f32_e32 v179, 0xbf5db3d7, v18
	v_add_f32_e32 v18, v172, v24
	v_sub_f32_e32 v19, v25, v29
	v_mov_b32_e32 v172, v22
	v_fma_f32 v23, -0.5, v23, v173
	ds_read2_b64 v[168:171], v36 offset0:96 offset1:204
	v_fmac_f32_e32 v172, 0xbf5db3d7, v19
	v_fmac_f32_e32 v22, 0x3f5db3d7, v19
	v_add_f32_e32 v19, v173, v25
	v_sub_f32_e32 v24, v24, v28
	v_mov_b32_e32 v173, v23
	v_add_f32_e32 v25, v26, v30
	v_fmac_f32_e32 v173, 0x3f5db3d7, v24
	v_fmac_f32_e32 v23, 0xbf5db3d7, v24
	v_add_f32_e32 v24, v174, v26
	v_fma_f32 v174, -0.5, v25, v174
	v_add_f32_e32 v18, v18, v28
	v_sub_f32_e32 v25, v27, v31
	v_mov_b32_e32 v28, v174
	v_fmac_f32_e32 v28, 0xbf5db3d7, v25
	v_fmac_f32_e32 v174, 0x3f5db3d7, v25
	v_add_f32_e32 v25, v175, v27
	v_add_f32_e32 v27, v27, v31
	v_fmac_f32_e32 v175, -0.5, v27
	s_waitcnt lgkmcnt(1)
	v_add_f32_e32 v27, v190, v196
	v_add_f32_e32 v19, v19, v29
	v_add_f32_e32 v24, v24, v30
	v_add_f32_e32 v25, v25, v31
	v_sub_f32_e32 v26, v26, v30
	v_mov_b32_e32 v29, v175
	s_waitcnt lgkmcnt(0)
	v_fma_f32 v30, -0.5, v27, v168
	v_add_f32_e32 v31, v191, v197
	v_fmac_f32_e32 v29, 0x3f5db3d7, v26
	v_fmac_f32_e32 v175, 0xbf5db3d7, v26
	v_add_f32_e32 v26, v168, v190
	v_sub_f32_e32 v27, v191, v197
	v_mov_b32_e32 v168, v30
	v_fma_f32 v31, -0.5, v31, v169
	v_fmac_f32_e32 v168, 0xbf5db3d7, v27
	v_fmac_f32_e32 v30, 0x3f5db3d7, v27
	v_add_f32_e32 v27, v169, v191
	v_sub_f32_e32 v36, v190, v196
	v_mov_b32_e32 v169, v31
	v_fmac_f32_e32 v169, 0x3f5db3d7, v36
	v_fmac_f32_e32 v31, 0xbf5db3d7, v36
	v_add_f32_e32 v36, v170, v192
	v_add_f32_e32 v190, v36, v198
	;; [unrolled: 1-line block ×3, first 2 shown]
	v_fma_f32 v170, -0.5, v36, v170
	v_add_f32_e32 v26, v26, v196
	v_sub_f32_e32 v36, v193, v199
	v_mov_b32_e32 v196, v170
	v_fmac_f32_e32 v196, 0xbf5db3d7, v36
	v_fmac_f32_e32 v170, 0x3f5db3d7, v36
	v_add_f32_e32 v36, v171, v193
	v_add_f32_e32 v191, v36, v199
	;; [unrolled: 1-line block ×3, first 2 shown]
	v_fmac_f32_e32 v171, -0.5, v36
	v_add_f32_e32 v27, v27, v197
	v_sub_f32_e32 v36, v192, v198
	v_mov_b32_e32 v197, v171
	v_fmac_f32_e32 v197, 0x3f5db3d7, v36
	v_fmac_f32_e32 v171, 0xbf5db3d7, v36
	s_barrier
	buffer_load_dword v36, off, s[24:27], 0 offset:384 ; 4-byte Folded Reload
	s_waitcnt vmcnt(0)
	ds_write2_b64 v36, v[32:33], v[34:35] offset1:1
	ds_write_b64 v36, v[184:185] offset:16
	buffer_load_dword v32, off, s[24:27], 0 offset:380 ; 4-byte Folded Reload
	s_waitcnt vmcnt(0)
	ds_write2_b64 v32, v[0:1], v[4:5] offset1:1
	ds_write_b64 v32, v[186:187] offset:16
	;; [unrolled: 4-line block ×10, first 2 shown]
	s_waitcnt lgkmcnt(0)
	s_barrier
	ds_read2_b64 v[184:187], v200 offset1:108
	ds_read2_b64 v[0:3], v38 offset0:56 offset1:164
	ds_read2_b64 v[4:7], v231 offset0:112 offset1:220
	;; [unrolled: 1-line block ×11, first 2 shown]
	s_waitcnt lgkmcnt(10)
	v_mul_f32_e32 v33, v85, v1
	v_fmac_f32_e32 v33, v84, v0
	v_mul_f32_e32 v0, v85, v0
	v_fma_f32 v0, v84, v1, -v0
	s_waitcnt lgkmcnt(9)
	v_mul_f32_e32 v1, v87, v5
	v_fmac_f32_e32 v1, v86, v4
	v_mul_f32_e32 v4, v87, v4
	v_fma_f32 v4, v86, v5, -v4
	v_mul_f32_e32 v5, v93, v3
	v_fmac_f32_e32 v5, v92, v2
	v_mul_f32_e32 v2, v93, v2
	v_fma_f32 v2, v92, v3, -v2
	;; [unrolled: 4-line block ×3, first 2 shown]
	s_waitcnt lgkmcnt(7)
	v_mul_f32_e32 v7, v97, v9
	v_fmac_f32_e32 v7, v96, v8
	v_mul_f32_e32 v8, v97, v8
	v_fma_f32 v8, v96, v9, -v8
	s_waitcnt lgkmcnt(6)
	v_mul_f32_e32 v9, v99, v13
	v_fmac_f32_e32 v9, v98, v12
	v_mul_f32_e32 v12, v99, v12
	v_fma_f32 v12, v98, v13, -v12
	v_mul_f32_e32 v13, v101, v11
	v_fmac_f32_e32 v13, v100, v10
	v_mul_f32_e32 v10, v101, v10
	v_fma_f32 v10, v100, v11, -v10
	;; [unrolled: 4-line block ×3, first 2 shown]
	s_waitcnt lgkmcnt(4)
	v_mul_f32_e32 v15, v105, v17
	v_fmac_f32_e32 v15, v104, v16
	v_mul_f32_e32 v16, v105, v16
	v_fma_f32 v16, v104, v17, -v16
	s_waitcnt lgkmcnt(3)
	v_mul_f32_e32 v17, v107, v21
	v_fmac_f32_e32 v17, v106, v20
	v_mul_f32_e32 v20, v107, v20
	v_mul_f32_e32 v36, v109, v19
	v_fma_f32 v20, v106, v21, -v20
	v_fmac_f32_e32 v36, v108, v18
	v_mul_f32_e32 v18, v109, v18
	v_mul_f32_e32 v21, v111, v22
	ds_read2_b64 v[168:171], v47 offset0:96 offset1:204
	ds_read2_b64 v[190:193], v44 offset0:24 offset1:132
	;; [unrolled: 1-line block ×3, first 2 shown]
	v_fma_f32 v18, v108, v19, -v18
	v_mul_f32_e32 v19, v111, v23
	v_fma_f32 v23, v110, v23, -v21
	s_waitcnt lgkmcnt(4)
	v_mul_f32_e32 v21, v113, v24
	v_fma_f32 v38, v112, v25, -v21
	s_waitcnt lgkmcnt(3)
	v_mul_f32_e32 v21, v115, v28
	v_fma_f32 v40, v114, v29, -v21
	v_mul_f32_e32 v21, v117, v26
	v_mov_b32_e32 v45, v42
	v_fma_f32 v42, v116, v27, -v21
	v_mul_f32_e32 v21, v119, v30
	v_fma_f32 v102, v118, v31, -v21
	s_waitcnt lgkmcnt(1)
	v_mul_f32_e32 v21, v121, v190
	v_fma_f32 v104, v120, v191, -v21
	s_waitcnt lgkmcnt(0)
	v_mul_f32_e32 v21, v123, v196
	v_fma_f32 v106, v122, v197, -v21
	v_mul_f32_e32 v21, v125, v192
	v_fma_f32 v108, v124, v193, -v21
	v_mul_f32_e32 v21, v127, v198
	v_fmac_f32_e32 v19, v110, v22
	v_fma_f32 v110, v126, v199, -v21
	v_add_f32_e32 v21, v184, v33
	v_add_f32_e32 v100, v21, v1
	;; [unrolled: 1-line block ×3, first 2 shown]
	v_fma_f32 v96, -0.5, v21, v184
	v_sub_f32_e32 v21, v0, v4
	v_mov_b32_e32 v32, v96
	v_fmac_f32_e32 v32, 0xbf5db3d7, v21
	v_fmac_f32_e32 v96, 0x3f5db3d7, v21
	v_add_f32_e32 v21, v185, v0
	v_add_f32_e32 v0, v0, v4
	v_fma_f32 v97, -0.5, v0, v185
	v_sub_f32_e32 v0, v33, v1
	v_mov_b32_e32 v33, v97
	v_fmac_f32_e32 v33, 0x3f5db3d7, v0
	v_fmac_f32_e32 v97, 0xbf5db3d7, v0
	v_add_f32_e32 v0, v186, v5
	v_add_f32_e32 v98, v0, v3
	;; [unrolled: 1-line block ×3, first 2 shown]
	v_fma_f32 v186, -0.5, v0, v186
	v_sub_f32_e32 v0, v2, v6
	v_mov_b32_e32 v34, v186
	v_fmac_f32_e32 v34, 0xbf5db3d7, v0
	v_fmac_f32_e32 v186, 0x3f5db3d7, v0
	v_add_f32_e32 v0, v187, v2
	v_add_f32_e32 v99, v0, v6
	;; [unrolled: 1-line block ×3, first 2 shown]
	v_fmac_f32_e32 v187, -0.5, v0
	v_sub_f32_e32 v0, v5, v3
	v_mov_b32_e32 v35, v187
	v_fmac_f32_e32 v35, 0x3f5db3d7, v0
	v_fmac_f32_e32 v187, 0xbf5db3d7, v0
	v_add_f32_e32 v0, v180, v7
	v_add_f32_e32 v92, v0, v9
	;; [unrolled: 1-line block ×3, first 2 shown]
	v_fma_f32 v86, -0.5, v0, v180
	v_sub_f32_e32 v0, v8, v12
	v_mov_b32_e32 v94, v86
	v_fmac_f32_e32 v94, 0xbf5db3d7, v0
	v_fmac_f32_e32 v86, 0x3f5db3d7, v0
	v_add_f32_e32 v0, v181, v8
	v_add_f32_e32 v93, v0, v12
	v_add_f32_e32 v0, v8, v12
	v_fma_f32 v87, -0.5, v0, v181
	v_sub_f32_e32 v0, v7, v9
	v_mov_b32_e32 v95, v87
	v_mul_f32_e32 v43, v119, v31
	v_fmac_f32_e32 v95, 0x3f5db3d7, v0
	v_fmac_f32_e32 v87, 0xbf5db3d7, v0
	v_add_f32_e32 v0, v182, v13
	v_fmac_f32_e32 v43, v118, v30
	v_add_f32_e32 v30, v0, v11
	v_add_f32_e32 v0, v13, v11
	v_fma_f32 v182, -0.5, v0, v182
	v_sub_f32_e32 v0, v10, v14
	v_mov_b32_e32 v84, v182
	v_fmac_f32_e32 v84, 0xbf5db3d7, v0
	v_fmac_f32_e32 v182, 0x3f5db3d7, v0
	v_add_f32_e32 v0, v183, v10
	v_add_f32_e32 v31, v0, v14
	;; [unrolled: 1-line block ×3, first 2 shown]
	v_fmac_f32_e32 v183, -0.5, v0
	v_sub_f32_e32 v0, v13, v11
	v_mov_b32_e32 v85, v183
	v_mul_f32_e32 v41, v117, v27
	v_fmac_f32_e32 v85, 0x3f5db3d7, v0
	v_fmac_f32_e32 v183, 0xbf5db3d7, v0
	v_add_f32_e32 v0, v176, v15
	v_mul_f32_e32 v37, v113, v25
	v_fmac_f32_e32 v41, v116, v26
	v_add_f32_e32 v26, v0, v17
	v_add_f32_e32 v0, v15, v17
	v_fmac_f32_e32 v37, v112, v24
	v_mul_f32_e32 v39, v115, v29
	v_fma_f32 v24, -0.5, v0, v176
	v_fmac_f32_e32 v39, v114, v28
	v_sub_f32_e32 v0, v16, v20
	v_mov_b32_e32 v28, v24
	v_fmac_f32_e32 v28, 0xbf5db3d7, v0
	v_fmac_f32_e32 v24, 0x3f5db3d7, v0
	v_add_f32_e32 v0, v177, v16
	v_add_f32_e32 v27, v0, v20
	;; [unrolled: 1-line block ×3, first 2 shown]
	v_fma_f32 v25, -0.5, v0, v177
	v_sub_f32_e32 v0, v15, v17
	v_mov_b32_e32 v29, v25
	v_fmac_f32_e32 v29, 0x3f5db3d7, v0
	v_fmac_f32_e32 v25, 0xbf5db3d7, v0
	v_add_f32_e32 v0, v178, v36
	v_add_f32_e32 v20, v0, v19
	;; [unrolled: 1-line block ×3, first 2 shown]
	v_fma_f32 v178, -0.5, v0, v178
	v_sub_f32_e32 v0, v18, v23
	v_mov_b32_e32 v22, v178
	v_fmac_f32_e32 v22, 0xbf5db3d7, v0
	v_fmac_f32_e32 v178, 0x3f5db3d7, v0
	v_add_f32_e32 v0, v179, v18
	v_add_f32_e32 v101, v21, v4
	;; [unrolled: 1-line block ×4, first 2 shown]
	v_fmac_f32_e32 v179, -0.5, v0
	v_sub_f32_e32 v0, v36, v19
	v_mov_b32_e32 v23, v179
	v_fmac_f32_e32 v23, 0x3f5db3d7, v0
	v_fmac_f32_e32 v179, 0xbf5db3d7, v0
	v_add_f32_e32 v0, v172, v37
	v_add_f32_e32 v16, v0, v39
	v_add_f32_e32 v0, v37, v39
	v_fma_f32 v14, -0.5, v0, v172
	v_sub_f32_e32 v0, v38, v40
	v_mov_b32_e32 v18, v14
	v_fmac_f32_e32 v18, 0xbf5db3d7, v0
	v_fmac_f32_e32 v14, 0x3f5db3d7, v0
	v_add_f32_e32 v0, v173, v38
	v_add_f32_e32 v17, v0, v40
	v_add_f32_e32 v0, v38, v40
	v_fma_f32 v15, -0.5, v0, v173
	v_sub_f32_e32 v0, v37, v39
	v_mov_b32_e32 v19, v15
	v_fmac_f32_e32 v19, 0x3f5db3d7, v0
	v_fmac_f32_e32 v15, 0xbf5db3d7, v0
	v_add_f32_e32 v0, v174, v41
	v_add_f32_e32 v10, v0, v43
	v_add_f32_e32 v0, v41, v43
	v_fma_f32 v174, -0.5, v0, v174
	v_sub_f32_e32 v0, v42, v102
	v_mov_b32_e32 v12, v174
	v_fmac_f32_e32 v12, 0xbf5db3d7, v0
	v_fmac_f32_e32 v174, 0x3f5db3d7, v0
	v_add_f32_e32 v0, v175, v42
	v_add_f32_e32 v11, v0, v102
	;; [unrolled: 1-line block ×3, first 2 shown]
	v_mul_f32_e32 v103, v121, v191
	v_fmac_f32_e32 v175, -0.5, v0
	v_fmac_f32_e32 v103, v120, v190
	v_mul_f32_e32 v105, v123, v197
	v_sub_f32_e32 v0, v41, v43
	v_mov_b32_e32 v13, v175
	v_fmac_f32_e32 v105, v122, v196
	v_fmac_f32_e32 v13, 0x3f5db3d7, v0
	;; [unrolled: 1-line block ×3, first 2 shown]
	v_add_f32_e32 v0, v168, v103
	v_add_f32_e32 v6, v0, v105
	;; [unrolled: 1-line block ×3, first 2 shown]
	v_fma_f32 v4, -0.5, v0, v168
	v_sub_f32_e32 v0, v104, v106
	v_mov_b32_e32 v8, v4
	v_fmac_f32_e32 v8, 0xbf5db3d7, v0
	v_fmac_f32_e32 v4, 0x3f5db3d7, v0
	v_add_f32_e32 v0, v169, v104
	v_mul_f32_e32 v107, v125, v193
	v_mul_f32_e32 v109, v127, v199
	v_add_f32_e32 v7, v0, v106
	v_add_f32_e32 v0, v104, v106
	v_fmac_f32_e32 v107, v124, v192
	v_fmac_f32_e32 v109, v126, v198
	v_fma_f32 v5, -0.5, v0, v169
	v_sub_f32_e32 v0, v103, v105
	v_mov_b32_e32 v9, v5
	v_add_f32_e32 v1, v107, v109
	v_fmac_f32_e32 v9, 0x3f5db3d7, v0
	v_fmac_f32_e32 v5, 0xbf5db3d7, v0
	v_add_f32_e32 v0, v170, v107
	v_fma_f32 v170, -0.5, v1, v170
	v_sub_f32_e32 v1, v108, v110
	v_mov_b32_e32 v2, v170
	v_add_f32_e32 v3, v108, v110
	v_fmac_f32_e32 v2, 0xbf5db3d7, v1
	v_fmac_f32_e32 v170, 0x3f5db3d7, v1
	v_add_f32_e32 v1, v171, v108
	v_fmac_f32_e32 v171, -0.5, v3
	v_sub_f32_e32 v36, v107, v109
	v_mov_b32_e32 v3, v171
	v_fmac_f32_e32 v3, 0x3f5db3d7, v36
	v_fmac_f32_e32 v171, 0xbf5db3d7, v36
	s_barrier
	buffer_load_dword v36, off, s[24:27], 0 offset:360 ; 4-byte Folded Reload
	s_waitcnt vmcnt(0)
	ds_write2_b64 v36, v[100:101], v[32:33] offset1:3
	ds_write_b64 v36, v[96:97] offset:48
	buffer_load_dword v32, off, s[24:27], 0 offset:348 ; 4-byte Folded Reload
	s_waitcnt vmcnt(0)
	ds_write2_b64 v32, v[98:99], v[34:35] offset1:3
	ds_write_b64 v32, v[186:187] offset:48
	;; [unrolled: 4-line block ×9, first 2 shown]
	buffer_load_dword v4, off, s[24:27], 0 offset:256 ; 4-byte Folded Reload
	v_add_f32_e32 v0, v0, v109
	v_add_f32_e32 v1, v1, v110
	s_waitcnt vmcnt(0)
	ds_write2_b64 v4, v[0:1], v[2:3] offset1:3
	ds_write_b64 v4, v[170:171] offset:48
	s_waitcnt lgkmcnt(0)
	s_barrier
	ds_read2_b64 v[92:95], v200 offset1:108
	ds_read2_b64 v[84:87], v188 offset0:88 offset1:196
	ds_read2_b64 v[2:5], v194 offset0:136 offset1:244
	;; [unrolled: 1-line block ×14, first 2 shown]
	s_waitcnt lgkmcnt(12)
	v_mul_f32_e32 v101, v247, v3
	v_fmac_f32_e32 v101, v246, v2
	v_mul_f32_e32 v2, v247, v2
	buffer_load_dword v7, off, s[24:27], 0 offset:272 ; 4-byte Folded Reload
	buffer_load_dword v8, off, s[24:27], 0 offset:276 ; 4-byte Folded Reload
	v_fma_f32 v97, v246, v3, -v2
	s_waitcnt lgkmcnt(11)
	v_mul_f32_e32 v35, v213, v23
	v_mul_f32_e32 v2, v213, v22
	v_fmac_f32_e32 v35, v212, v22
	v_fma_f32 v2, v212, v23, -v2
	buffer_load_dword v22, off, s[24:27], 0 offset:248 ; 4-byte Folded Reload
	buffer_load_dword v23, off, s[24:27], 0 offset:252 ; 4-byte Folded Reload
	;; [unrolled: 1-line block ×4, first 2 shown]
	s_waitcnt lgkmcnt(8)
	v_mul_f32_e32 v6, v219, v104
	v_fma_f32 v99, v218, v105, -v6
	s_waitcnt lgkmcnt(7)
	v_mul_f32_e32 v6, v221, v110
	v_fma_f32 v31, v220, v111, -v6
	;; [unrolled: 3-line block ×3, first 2 shown]
	v_mul_f32_e32 v102, v215, v16
	s_waitcnt lgkmcnt(5)
	v_mul_f32_e32 v32, v251, v116
	v_fmac_f32_e32 v102, v214, v15
	v_mul_f32_e32 v3, v215, v15
	s_waitcnt lgkmcnt(1)
	v_mul_f32_e32 v10, v53, v173
	v_fma_f32 v39, v250, v117, -v32
	v_mul_f32_e32 v103, v219, v105
	v_fmac_f32_e32 v10, v52, v172
	v_fmac_f32_e32 v103, v218, v104
	v_mul_f32_e32 v104, v223, v113
	v_mul_f32_e32 v14, v71, v5
	v_fma_f32 v98, v214, v16, -v3
	v_fmac_f32_e32 v104, v222, v112
	v_fmac_f32_e32 v14, v70, v4
	v_mul_f32_e32 v4, v71, v4
	v_mul_f32_e32 v16, v67, v18
	v_fma_f32 v11, v70, v5, -v4
	v_fmac_f32_e32 v16, v66, v17
	v_mul_f32_e32 v5, v67, v17
	v_mul_f32_e32 v28, v55, v115
	;; [unrolled: 1-line block ×3, first 2 shown]
	v_fma_f32 v12, v66, v18, -v5
	v_mul_f32_e32 v5, v57, v168
	v_fmac_f32_e32 v28, v54, v114
	v_fma_f32 v17, v54, v115, -v17
	v_fma_f32 v5, v56, v169, -v5
	v_sub_f32_e32 v40, v104, v103
	v_mul_f32_e32 v0, v245, v87
	v_sub_f32_e32 v42, v103, v104
	v_fmac_f32_e32 v0, v244, v86
	v_mul_f32_e32 v1, v245, v86
	v_mul_f32_e32 v86, v217, v27
	v_fmac_f32_e32 v86, v216, v26
	v_mul_f32_e32 v3, v217, v26
	v_mul_f32_e32 v26, v59, v107
	v_fmac_f32_e32 v26, v58, v106
	v_fma_f32 v1, v244, v87, -v1
	v_mul_f32_e32 v87, v221, v111
	v_mul_f32_e32 v4, v65, v124
	v_fmac_f32_e32 v87, v220, v110
	v_fma_f32 v4, v64, v125, -v4
	v_fma_f32 v3, v216, v27, -v3
	v_sub_f32_e32 v66, v35, v86
	v_mul_f32_e32 v9, v69, v121
	v_fmac_f32_e32 v9, v68, v120
	v_mul_f32_e32 v19, v49, v122
	v_fma_f32 v19, v48, v123, -v19
	s_waitcnt vmcnt(0) lgkmcnt(0)
	s_barrier
	v_mul_f32_e32 v96, v8, v119
	v_mul_f32_e32 v6, v8, v118
	v_fmac_f32_e32 v96, v7, v118
	v_fma_f32 v34, v7, v119, -v6
	v_mul_f32_e32 v7, v59, v106
	v_fma_f32 v15, v58, v107, -v7
	v_mul_f32_e32 v7, v53, v172
	v_mul_f32_e32 v32, v37, v178
	v_fma_f32 v7, v52, v173, -v7
	v_fma_f32 v52, v36, v179, -v32
	v_add_f32_e32 v32, v92, v101
	v_add_f32_e32 v32, v32, v102
	;; [unrolled: 1-line block ×5, first 2 shown]
	v_mul_f32_e32 v8, v57, v169
	v_fma_f32 v54, -0.5, v32, v92
	v_fmac_f32_e32 v8, v56, v168
	v_mul_f32_e32 v53, v37, v179
	v_sub_f32_e32 v32, v97, v100
	v_mov_b32_e32 v56, v54
	v_fmac_f32_e32 v53, v36, v178
	v_fmac_f32_e32 v56, 0xbf737871, v32
	v_sub_f32_e32 v36, v98, v99
	v_sub_f32_e32 v37, v101, v102
	v_fmac_f32_e32 v54, 0x3f737871, v32
	v_fmac_f32_e32 v56, 0xbf167918, v36
	v_add_f32_e32 v37, v37, v40
	v_fmac_f32_e32 v54, 0x3f167918, v36
	v_fmac_f32_e32 v56, 0x3e9e377a, v37
	;; [unrolled: 1-line block ×3, first 2 shown]
	v_add_f32_e32 v37, v101, v104
	v_fma_f32 v40, -0.5, v37, v92
	v_mov_b32_e32 v41, v40
	v_fmac_f32_e32 v41, 0x3f737871, v36
	v_sub_f32_e32 v37, v102, v101
	v_fmac_f32_e32 v40, 0xbf737871, v36
	v_add_f32_e32 v36, v98, v99
	v_add_f32_e32 v37, v37, v42
	v_fma_f32 v42, -0.5, v36, v93
	v_fmac_f32_e32 v41, 0xbf167918, v32
	v_fmac_f32_e32 v40, 0x3f167918, v32
	v_sub_f32_e32 v36, v101, v104
	v_mov_b32_e32 v43, v42
	v_fmac_f32_e32 v41, 0x3e9e377a, v37
	v_fmac_f32_e32 v40, 0x3e9e377a, v37
	;; [unrolled: 1-line block ×3, first 2 shown]
	v_sub_f32_e32 v37, v102, v103
	v_sub_f32_e32 v57, v97, v98
	;; [unrolled: 1-line block ×3, first 2 shown]
	v_fmac_f32_e32 v42, 0xbf737871, v36
	v_fmac_f32_e32 v43, 0x3f167918, v37
	v_add_f32_e32 v57, v57, v58
	v_fmac_f32_e32 v42, 0xbf167918, v37
	v_fmac_f32_e32 v43, 0x3e9e377a, v57
	;; [unrolled: 1-line block ×3, first 2 shown]
	v_add_f32_e32 v57, v97, v100
	v_fma_f32 v57, -0.5, v57, v93
	v_mov_b32_e32 v58, v57
	v_mul_f32_e32 v6, v69, v120
	v_fmac_f32_e32 v58, 0xbf737871, v37
	v_fmac_f32_e32 v57, 0x3f737871, v37
	v_fma_f32 v13, v68, v121, -v6
	v_mul_f32_e32 v6, v65, v125
	v_fmac_f32_e32 v58, 0x3f167918, v36
	v_fmac_f32_e32 v57, 0xbf167918, v36
	v_add_f32_e32 v36, v0, v35
	v_fmac_f32_e32 v6, v64, v124
	v_sub_f32_e32 v59, v98, v97
	v_sub_f32_e32 v64, v99, v100
	v_add_f32_e32 v36, v36, v86
	v_add_f32_e32 v59, v59, v64
	;; [unrolled: 1-line block ×3, first 2 shown]
	v_fmac_f32_e32 v58, 0x3e9e377a, v59
	v_fmac_f32_e32 v57, 0x3e9e377a, v59
	v_add_f32_e32 v59, v36, v96
	v_add_f32_e32 v36, v86, v87
	v_fma_f32 v37, -0.5, v36, v0
	v_sub_f32_e32 v36, v2, v34
	v_mov_b32_e32 v64, v37
	v_fmac_f32_e32 v64, 0xbf737871, v36
	v_sub_f32_e32 v65, v3, v31
	v_sub_f32_e32 v67, v96, v87
	v_fmac_f32_e32 v37, 0x3f737871, v36
	v_fmac_f32_e32 v64, 0xbf167918, v65
	v_add_f32_e32 v66, v66, v67
	v_fmac_f32_e32 v37, 0x3f167918, v65
	v_fmac_f32_e32 v64, 0x3e9e377a, v66
	;; [unrolled: 1-line block ×3, first 2 shown]
	v_add_f32_e32 v66, v35, v96
	v_fmac_f32_e32 v0, -0.5, v66
	v_mov_b32_e32 v66, v0
	v_fmac_f32_e32 v66, 0x3f737871, v65
	v_fmac_f32_e32 v0, 0xbf737871, v65
	v_fmac_f32_e32 v66, 0xbf167918, v36
	v_fmac_f32_e32 v0, 0x3f167918, v36
	v_add_f32_e32 v36, v1, v2
	v_add_f32_e32 v36, v36, v3
	v_sub_f32_e32 v67, v86, v35
	v_sub_f32_e32 v68, v87, v96
	v_add_f32_e32 v36, v36, v31
	v_add_f32_e32 v67, v67, v68
	v_add_f32_e32 v65, v36, v34
	v_add_f32_e32 v36, v3, v31
	v_fmac_f32_e32 v66, 0x3e9e377a, v67
	v_fmac_f32_e32 v0, 0x3e9e377a, v67
	v_fma_f32 v67, -0.5, v36, v1
	v_sub_f32_e32 v35, v35, v96
	v_mov_b32_e32 v68, v67
	v_fmac_f32_e32 v68, 0x3f737871, v35
	v_sub_f32_e32 v36, v86, v87
	v_sub_f32_e32 v69, v2, v3
	;; [unrolled: 1-line block ×3, first 2 shown]
	v_fmac_f32_e32 v67, 0xbf737871, v35
	v_fmac_f32_e32 v68, 0x3f167918, v36
	v_add_f32_e32 v69, v69, v70
	v_fmac_f32_e32 v67, 0xbf167918, v36
	v_fmac_f32_e32 v68, 0x3e9e377a, v69
	;; [unrolled: 1-line block ×3, first 2 shown]
	v_add_f32_e32 v69, v2, v34
	v_fmac_f32_e32 v1, -0.5, v69
	v_add_f32_e32 v32, v93, v97
	v_mov_b32_e32 v69, v1
	v_add_f32_e32 v32, v32, v98
	v_fmac_f32_e32 v69, 0xbf737871, v36
	v_sub_f32_e32 v2, v3, v2
	v_sub_f32_e32 v3, v31, v34
	v_fmac_f32_e32 v1, 0x3f737871, v36
	v_add_f32_e32 v32, v32, v99
	v_fmac_f32_e32 v69, 0x3f167918, v35
	v_add_f32_e32 v2, v2, v3
	;; [unrolled: 2-line block ×3, first 2 shown]
	v_fmac_f32_e32 v69, 0x3e9e377a, v2
	v_fmac_f32_e32 v1, 0x3e9e377a, v2
	v_mul_f32_e32 v2, 0xbf167918, v68
	v_mul_f32_e32 v35, 0x3f4f1bbd, v68
	v_fmac_f32_e32 v2, 0x3f4f1bbd, v64
	v_mul_f32_e32 v3, 0xbf737871, v69
	v_mul_f32_e32 v34, 0xbf167918, v67
	v_add_f32_e32 v101, v32, v65
	v_fmac_f32_e32 v35, 0x3f167918, v64
	v_mul_f32_e32 v64, 0x3e9e377a, v69
	v_sub_f32_e32 v93, v32, v65
	v_add_f32_e32 v32, v16, v26
	v_fmac_f32_e32 v3, 0x3e9e377a, v66
	v_mul_f32_e32 v31, 0xbf737871, v1
	v_fmac_f32_e32 v34, 0xbf4f1bbd, v37
	v_fmac_f32_e32 v64, 0x3f737871, v66
	v_mul_f32_e32 v66, 0xbf4f1bbd, v67
	v_fma_f32 v32, -0.5, v32, v94
	v_add_f32_e32 v102, v56, v2
	v_fmac_f32_e32 v31, 0xbe9e377a, v0
	v_add_f32_e32 v36, v54, v34
	v_add_f32_e32 v103, v43, v35
	v_mul_f32_e32 v1, 0xbe9e377a, v1
	v_fmac_f32_e32 v66, 0x3f167918, v37
	v_sub_f32_e32 v70, v56, v2
	v_sub_f32_e32 v2, v54, v34
	;; [unrolled: 1-line block ×4, first 2 shown]
	v_mov_b32_e32 v35, v32
	v_add_f32_e32 v96, v41, v3
	v_add_f32_e32 v98, v40, v31
	v_fmac_f32_e32 v1, 0x3f737871, v0
	v_add_f32_e32 v37, v42, v66
	v_sub_f32_e32 v86, v41, v3
	v_sub_f32_e32 v0, v40, v31
	;; [unrolled: 1-line block ×3, first 2 shown]
	v_fmac_f32_e32 v35, 0xbf737871, v34
	v_sub_f32_e32 v40, v12, v15
	v_sub_f32_e32 v41, v14, v16
	;; [unrolled: 1-line block ×3, first 2 shown]
	v_fmac_f32_e32 v32, 0x3f737871, v34
	v_fmac_f32_e32 v35, 0xbf167918, v40
	v_add_f32_e32 v41, v41, v42
	v_fmac_f32_e32 v32, 0x3f167918, v40
	v_fmac_f32_e32 v35, 0x3e9e377a, v41
	;; [unrolled: 1-line block ×3, first 2 shown]
	v_add_f32_e32 v41, v14, v28
	v_fma_f32 v41, -0.5, v41, v94
	v_mov_b32_e32 v42, v41
	v_fmac_f32_e32 v42, 0x3f737871, v40
	v_fmac_f32_e32 v41, 0xbf737871, v40
	;; [unrolled: 1-line block ×4, first 2 shown]
	v_add_f32_e32 v34, v95, v11
	v_add_f32_e32 v34, v34, v12
	v_sub_f32_e32 v43, v16, v14
	v_sub_f32_e32 v54, v26, v28
	v_add_f32_e32 v34, v34, v15
	v_add_f32_e32 v31, v94, v14
	;; [unrolled: 1-line block ×6, first 2 shown]
	v_fmac_f32_e32 v42, 0x3e9e377a, v43
	v_fmac_f32_e32 v41, 0x3e9e377a, v43
	v_fma_f32 v43, -0.5, v34, v95
	v_add_f32_e32 v31, v31, v26
	v_sub_f32_e32 v14, v14, v28
	v_mov_b32_e32 v54, v43
	v_add_f32_e32 v31, v31, v28
	v_fmac_f32_e32 v54, 0x3f737871, v14
	v_sub_f32_e32 v16, v16, v26
	v_sub_f32_e32 v26, v11, v12
	;; [unrolled: 1-line block ×3, first 2 shown]
	v_fmac_f32_e32 v43, 0xbf737871, v14
	v_fmac_f32_e32 v54, 0x3f167918, v16
	v_add_f32_e32 v26, v26, v28
	v_fmac_f32_e32 v43, 0xbf167918, v16
	v_fmac_f32_e32 v54, 0x3e9e377a, v26
	;; [unrolled: 1-line block ×3, first 2 shown]
	v_add_f32_e32 v26, v11, v17
	v_fmac_f32_e32 v95, -0.5, v26
	v_mov_b32_e32 v26, v95
	v_fmac_f32_e32 v26, 0xbf737871, v16
	v_sub_f32_e32 v11, v12, v11
	v_sub_f32_e32 v12, v15, v17
	v_fmac_f32_e32 v95, 0x3f737871, v16
	v_fmac_f32_e32 v26, 0x3f167918, v14
	v_add_f32_e32 v11, v11, v12
	v_fmac_f32_e32 v95, 0xbf167918, v14
	v_fmac_f32_e32 v26, 0x3e9e377a, v11
	;; [unrolled: 1-line block ×3, first 2 shown]
	v_add_f32_e32 v11, v9, v6
	v_mul_f32_e32 v30, v23, v177
	v_add_f32_e32 v11, v11, v8
	v_fmac_f32_e32 v30, v22, v176
	v_add_f32_e32 v11, v11, v10
	v_mul_f32_e32 v18, v23, v176
	v_add_f32_e32 v14, v11, v30
	v_add_f32_e32 v11, v8, v10
	v_fma_f32 v29, v22, v177, -v18
	v_fma_f32 v15, -0.5, v11, v9
	v_sub_f32_e32 v11, v4, v29
	v_mov_b32_e32 v16, v15
	v_fmac_f32_e32 v16, 0xbf737871, v11
	v_sub_f32_e32 v12, v5, v7
	v_sub_f32_e32 v17, v6, v8
	;; [unrolled: 1-line block ×3, first 2 shown]
	v_fmac_f32_e32 v15, 0x3f737871, v11
	v_fmac_f32_e32 v16, 0xbf167918, v12
	v_add_f32_e32 v17, v17, v28
	v_fmac_f32_e32 v15, 0x3f167918, v12
	v_fmac_f32_e32 v16, 0x3e9e377a, v17
	;; [unrolled: 1-line block ×3, first 2 shown]
	v_add_f32_e32 v17, v6, v30
	v_fmac_f32_e32 v9, -0.5, v17
	v_mov_b32_e32 v17, v9
	v_fmac_f32_e32 v17, 0x3f737871, v12
	v_fmac_f32_e32 v9, 0xbf737871, v12
	;; [unrolled: 1-line block ×4, first 2 shown]
	v_add_f32_e32 v11, v13, v4
	v_add_f32_e32 v11, v11, v5
	v_sub_f32_e32 v28, v8, v6
	v_sub_f32_e32 v34, v10, v30
	v_add_f32_e32 v11, v11, v7
	v_add_f32_e32 v100, v55, v59
	v_sub_f32_e32 v92, v55, v59
	v_add_f32_e32 v28, v28, v34
	v_add_f32_e32 v55, v11, v29
	;; [unrolled: 1-line block ×3, first 2 shown]
	v_fmac_f32_e32 v17, 0x3e9e377a, v28
	v_fmac_f32_e32 v9, 0x3e9e377a, v28
	v_fma_f32 v28, -0.5, v11, v13
	v_sub_f32_e32 v6, v6, v30
	v_mov_b32_e32 v11, v28
	v_fmac_f32_e32 v11, 0x3f737871, v6
	v_sub_f32_e32 v8, v8, v10
	v_sub_f32_e32 v10, v4, v5
	;; [unrolled: 1-line block ×3, first 2 shown]
	v_fmac_f32_e32 v28, 0xbf737871, v6
	v_fmac_f32_e32 v11, 0x3f167918, v8
	v_add_f32_e32 v10, v10, v12
	v_fmac_f32_e32 v28, 0xbf167918, v8
	v_mul_f32_e32 v18, v49, v123
	v_fmac_f32_e32 v11, 0x3e9e377a, v10
	v_fmac_f32_e32 v28, 0x3e9e377a, v10
	v_add_f32_e32 v10, v4, v29
	v_fmac_f32_e32 v18, v48, v122
	v_mul_f32_e32 v48, v51, v21
	v_fmac_f32_e32 v13, -0.5, v10
	v_fmac_f32_e32 v48, v50, v20
	v_mul_f32_e32 v20, v51, v20
	v_mov_b32_e32 v30, v13
	v_sub_f32_e32 v4, v5, v4
	v_sub_f32_e32 v5, v7, v29
	v_fmac_f32_e32 v13, 0x3f737871, v8
	v_fma_f32 v27, v50, v21, -v20
	v_mul_f32_e32 v49, v211, v25
	v_mul_f32_e32 v50, v255, v109
	v_add_f32_e32 v97, v58, v64
	v_sub_f32_e32 v87, v58, v64
	v_fmac_f32_e32 v30, 0xbf737871, v8
	v_add_f32_e32 v4, v4, v5
	v_fmac_f32_e32 v13, 0xbf167918, v6
	v_mul_f32_e32 v58, 0xbf167918, v28
	v_fmac_f32_e32 v49, v210, v24
	v_fmac_f32_e32 v50, v254, v108
	;; [unrolled: 1-line block ×5, first 2 shown]
	v_add_f32_e32 v99, v57, v1
	v_sub_f32_e32 v1, v57, v1
	v_fmac_f32_e32 v30, 0x3e9e377a, v4
	v_mul_f32_e32 v29, 0xbf167918, v11
	v_mul_f32_e32 v57, 0xbf737871, v13
	v_add_f32_e32 v8, v32, v58
	v_mul_f32_e32 v66, 0xbf4f1bbd, v28
	v_sub_f32_e32 v28, v32, v58
	v_add_f32_e32 v32, v49, v50
	v_mul_f32_e32 v21, v211, v24
	v_mul_f32_e32 v23, v255, v108
	v_mul_f32_e32 v51, v251, v117
	v_fmac_f32_e32 v29, 0x3f4f1bbd, v16
	v_mul_f32_e32 v56, 0xbf737871, v30
	v_fmac_f32_e32 v57, 0xbe9e377a, v9
	v_mul_f32_e32 v59, 0x3f4f1bbd, v11
	v_fma_f32 v32, -0.5, v32, v84
	v_fma_f32 v33, v210, v25, -v21
	v_fma_f32 v38, v254, v109, -v23
	v_fmac_f32_e32 v51, v250, v116
	v_add_f32_e32 v4, v31, v14
	v_add_f32_e32 v10, v35, v29
	v_fmac_f32_e32 v56, 0x3e9e377a, v17
	v_add_f32_e32 v12, v41, v57
	v_add_f32_e32 v5, v40, v55
	v_fmac_f32_e32 v59, 0x3f167918, v16
	v_mul_f32_e32 v64, 0x3e9e377a, v30
	v_mul_f32_e32 v65, 0xbe9e377a, v13
	v_fmac_f32_e32 v66, 0x3f167918, v15
	v_sub_f32_e32 v34, v31, v14
	v_sub_f32_e32 v30, v35, v29
	;; [unrolled: 1-line block ×5, first 2 shown]
	v_mov_b32_e32 v41, v32
	v_add_f32_e32 v6, v42, v56
	v_add_f32_e32 v11, v54, v59
	v_fmac_f32_e32 v65, 0x3f737871, v9
	v_add_f32_e32 v9, v43, v66
	v_sub_f32_e32 v16, v42, v56
	v_sub_f32_e32 v31, v54, v59
	;; [unrolled: 1-line block ×3, first 2 shown]
	v_fmac_f32_e32 v41, 0xbf737871, v40
	v_sub_f32_e32 v42, v33, v38
	v_sub_f32_e32 v43, v48, v49
	v_sub_f32_e32 v54, v51, v50
	v_fmac_f32_e32 v32, 0x3f737871, v40
	v_fmac_f32_e32 v41, 0xbf167918, v42
	v_add_f32_e32 v43, v43, v54
	v_fmac_f32_e32 v32, 0x3f167918, v42
	v_fmac_f32_e32 v41, 0x3e9e377a, v43
	v_fmac_f32_e32 v32, 0x3e9e377a, v43
	v_add_f32_e32 v43, v48, v51
	v_fma_f32 v43, -0.5, v43, v84
	v_fmac_f32_e32 v64, 0x3f737871, v17
	v_mov_b32_e32 v56, v43
	v_add_f32_e32 v7, v26, v64
	v_sub_f32_e32 v17, v26, v64
	v_add_f32_e32 v26, v84, v48
	v_fmac_f32_e32 v56, 0x3f737871, v42
	v_fmac_f32_e32 v43, 0xbf737871, v42
	v_add_f32_e32 v42, v33, v38
	v_add_f32_e32 v26, v26, v49
	v_fma_f32 v42, -0.5, v42, v85
	v_add_f32_e32 v26, v26, v50
	v_sub_f32_e32 v54, v49, v48
	v_sub_f32_e32 v48, v48, v51
	v_mov_b32_e32 v57, v42
	v_add_f32_e32 v26, v26, v51
	v_sub_f32_e32 v55, v50, v51
	v_fmac_f32_e32 v57, 0x3f737871, v48
	v_sub_f32_e32 v49, v49, v50
	v_sub_f32_e32 v50, v27, v33
	;; [unrolled: 1-line block ×3, first 2 shown]
	v_fmac_f32_e32 v42, 0xbf737871, v48
	v_mul_f32_e32 v24, v253, v171
	v_mul_f32_e32 v25, v249, v175
	v_fmac_f32_e32 v56, 0xbf167918, v40
	v_fmac_f32_e32 v43, 0x3f167918, v40
	v_add_f32_e32 v40, v85, v27
	v_fmac_f32_e32 v57, 0x3f167918, v49
	v_add_f32_e32 v50, v50, v51
	v_fmac_f32_e32 v42, 0xbf167918, v49
	v_fmac_f32_e32 v24, v252, v170
	v_fmac_f32_e32 v25, v248, v174
	v_add_f32_e32 v40, v40, v33
	v_fmac_f32_e32 v57, 0x3e9e377a, v50
	v_fmac_f32_e32 v42, 0x3e9e377a, v50
	v_add_f32_e32 v50, v27, v39
	v_sub_f32_e32 v27, v33, v27
	v_sub_f32_e32 v33, v38, v39
	v_mul_f32_e32 v20, v209, v126
	v_fmac_f32_e32 v85, -0.5, v50
	v_add_f32_e32 v27, v27, v33
	v_add_f32_e32 v33, v24, v25
	v_mul_f32_e32 v22, v209, v127
	v_fma_f32 v20, v208, v127, -v20
	v_mul_f32_e32 v21, v253, v170
	v_mul_f32_e32 v23, v249, v174
	v_mov_b32_e32 v59, v85
	v_fma_f32 v33, -0.5, v33, v18
	v_fmac_f32_e32 v22, v208, v126
	v_fma_f32 v21, v252, v171, -v21
	v_fma_f32 v23, v248, v175, -v23
	v_add_f32_e32 v40, v40, v38
	v_fmac_f32_e32 v59, 0xbf737871, v49
	v_fmac_f32_e32 v85, 0x3f737871, v49
	v_sub_f32_e32 v38, v20, v52
	v_mov_b32_e32 v49, v33
	v_add_f32_e32 v40, v40, v39
	v_fmac_f32_e32 v59, 0x3f167918, v48
	v_fmac_f32_e32 v85, 0xbf167918, v48
	;; [unrolled: 1-line block ×3, first 2 shown]
	v_sub_f32_e32 v39, v21, v23
	v_sub_f32_e32 v48, v22, v24
	;; [unrolled: 1-line block ×3, first 2 shown]
	v_fmac_f32_e32 v33, 0x3f737871, v38
	v_fmac_f32_e32 v49, 0xbf167918, v39
	v_add_f32_e32 v48, v48, v50
	v_fmac_f32_e32 v33, 0x3f167918, v39
	v_fmac_f32_e32 v49, 0x3e9e377a, v48
	;; [unrolled: 1-line block ×3, first 2 shown]
	v_add_f32_e32 v48, v22, v53
	v_fmac_f32_e32 v59, 0x3e9e377a, v27
	v_fmac_f32_e32 v85, 0x3e9e377a, v27
	v_add_f32_e32 v27, v18, v22
	v_fmac_f32_e32 v18, -0.5, v48
	v_mov_b32_e32 v51, v18
	v_fmac_f32_e32 v51, 0x3f737871, v39
	v_fmac_f32_e32 v18, 0xbf737871, v39
	;; [unrolled: 1-line block ×4, first 2 shown]
	v_add_f32_e32 v38, v19, v20
	v_add_f32_e32 v38, v38, v21
	;; [unrolled: 1-line block ×4, first 2 shown]
	v_sub_f32_e32 v15, v95, v65
	v_add_f32_e32 v27, v27, v24
	v_add_f32_e32 v65, v38, v52
	;; [unrolled: 1-line block ×4, first 2 shown]
	v_fma_f32 v58, -0.5, v38, v19
	v_add_f32_e32 v27, v27, v53
	v_sub_f32_e32 v48, v24, v22
	v_sub_f32_e32 v50, v25, v53
	;; [unrolled: 1-line block ×3, first 2 shown]
	v_mov_b32_e32 v53, v58
	v_fmac_f32_e32 v53, 0x3f737871, v22
	v_sub_f32_e32 v24, v24, v25
	v_sub_f32_e32 v25, v20, v21
	;; [unrolled: 1-line block ×3, first 2 shown]
	v_fmac_f32_e32 v58, 0xbf737871, v22
	v_fmac_f32_e32 v53, 0x3f167918, v24
	v_add_f32_e32 v25, v25, v38
	v_fmac_f32_e32 v58, 0xbf167918, v24
	v_fmac_f32_e32 v53, 0x3e9e377a, v25
	v_fmac_f32_e32 v58, 0x3e9e377a, v25
	v_add_f32_e32 v25, v20, v52
	v_fmac_f32_e32 v19, -0.5, v25
	v_mov_b32_e32 v25, v19
	v_sub_f32_e32 v20, v21, v20
	v_sub_f32_e32 v21, v23, v52
	v_fmac_f32_e32 v19, 0x3f737871, v24
	v_fmac_f32_e32 v25, 0xbf737871, v24
	v_add_f32_e32 v20, v20, v21
	v_fmac_f32_e32 v19, 0xbf167918, v22
	v_add_f32_e32 v48, v48, v50
	v_fmac_f32_e32 v25, 0x3f167918, v22
	v_fmac_f32_e32 v19, 0x3e9e377a, v20
	;; [unrolled: 1-line block ×4, first 2 shown]
	v_mul_f32_e32 v22, 0xbf737871, v19
	v_mul_f32_e32 v19, 0xbe9e377a, v19
	v_fmac_f32_e32 v51, 0x3e9e377a, v48
	v_mul_f32_e32 v21, 0xbf737871, v25
	v_fmac_f32_e32 v22, 0xbe9e377a, v18
	;; [unrolled: 2-line block ×3, first 2 shown]
	v_mul_f32_e32 v18, 0xbf4f1bbd, v58
	v_mul_f32_e32 v20, 0xbf167918, v53
	;; [unrolled: 1-line block ×3, first 2 shown]
	v_fmac_f32_e32 v25, 0x3f737871, v51
	v_fmac_f32_e32 v18, 0x3f167918, v33
	;; [unrolled: 1-line block ×5, first 2 shown]
	v_add_f32_e32 v49, v59, v25
	v_add_f32_e32 v51, v42, v18
	v_sub_f32_e32 v67, v59, v25
	v_sub_f32_e32 v59, v42, v18
	buffer_load_dword v18, off, s[24:27], 0 offset:324 ; 4-byte Folded Reload
	s_waitcnt vmcnt(0)
	ds_write2_b64 v18, v[100:101], v[102:103] offset1:9
	ds_write2_b64 v18, v[96:97], v[98:99] offset0:18 offset1:27
	ds_write2_b64 v18, v[36:37], v[92:93] offset0:36 offset1:45
	;; [unrolled: 1-line block ×4, first 2 shown]
	buffer_load_dword v0, off, s[24:27], 0 offset:260 ; 4-byte Folded Reload
	s_waitcnt vmcnt(0)
	ds_write2_b64 v0, v[4:5], v[10:11] offset1:9
	ds_write2_b64 v0, v[6:7], v[12:13] offset0:18 offset1:27
	ds_write2_b64 v0, v[8:9], v[34:35] offset0:36 offset1:45
	;; [unrolled: 1-line block ×4, first 2 shown]
	buffer_load_dword v0, off, s[24:27], 0 offset:264 ; 4-byte Folded Reload
	v_add_f32_e32 v54, v54, v55
	v_mul_f32_e32 v23, 0xbf167918, v58
	v_fmac_f32_e32 v56, 0x3e9e377a, v54
	v_fmac_f32_e32 v43, 0x3e9e377a, v54
	v_fmac_f32_e32 v23, 0xbf4f1bbd, v33
	v_add_f32_e32 v38, v26, v27
	v_add_f32_e32 v52, v41, v20
	;; [unrolled: 1-line block ×8, first 2 shown]
	v_sub_f32_e32 v68, v26, v27
	v_sub_f32_e32 v64, v41, v20
	;; [unrolled: 1-line block ×8, first 2 shown]
	s_waitcnt vmcnt(0)
	ds_write2_b64 v0, v[38:39], v[52:53] offset1:9
	ds_write2_b64 v0, v[48:49], v[54:55] offset0:18 offset1:27
	ds_write2_b64 v0, v[50:51], v[68:69] offset0:36 offset1:45
	ds_write2_b64 v0, v[64:65], v[66:67] offset0:54 offset1:63
	ds_write2_b64 v0, v[56:57], v[58:59] offset0:72 offset1:81
	s_waitcnt lgkmcnt(0)
	s_barrier
	ds_read2_b64 v[4:7], v200 offset1:108
	ds_read2_b64 v[0:3], v203 offset0:48 offset1:156
	ds_read2_b64 v[8:11], v230 offset0:56 offset1:164
	;; [unrolled: 1-line block ×14, first 2 shown]
	buffer_load_dword v38, off, s[24:27], 0 offset:280 ; 4-byte Folded Reload
	buffer_load_dword v39, off, s[24:27], 0 offset:284 ; 4-byte Folded Reload
	s_waitcnt lgkmcnt(13)
	v_mul_f32_e32 v32, v233, v3
	v_fmac_f32_e32 v32, v232, v2
	v_mul_f32_e32 v2, v233, v2
	v_fma_f32 v37, v232, v3, -v2
	s_waitcnt lgkmcnt(12)
	v_mul_f32_e32 v2, v235, v9
	v_mul_f32_e32 v3, v235, v8
	v_fmac_f32_e32 v2, v234, v8
	v_fma_f32 v3, v234, v9, -v3
	s_waitcnt lgkmcnt(11)
	v_mul_f32_e32 v8, v227, v15
	v_mul_f32_e32 v9, v227, v14
	v_fmac_f32_e32 v8, v226, v14
	;; [unrolled: 5-line block ×3, first 2 shown]
	v_fma_f32 v15, v228, v17, -v15
	v_mov_b32_e32 v96, v44
	v_mov_b32_e32 v93, v46
	;; [unrolled: 1-line block ×3, first 2 shown]
	s_waitcnt lgkmcnt(4)
	v_mul_f32_e32 v45, v79, v55
	v_fmac_f32_e32 v45, v78, v54
	v_mov_b32_e32 v103, v47
	s_waitcnt lgkmcnt(1)
	v_mul_f32_e32 v47, v73, v69
	v_fmac_f32_e32 v47, v72, v68
	s_waitcnt vmcnt(0)
	v_mul_f32_e32 v16, v39, v23
	v_mul_f32_e32 v17, v39, v22
	buffer_load_dword v39, off, s[24:27], 0 offset:296 ; 4-byte Folded Reload
	buffer_load_dword v40, off, s[24:27], 0 offset:300 ; 4-byte Folded Reload
	v_fmac_f32_e32 v16, v38, v22
	v_mul_f32_e32 v22, v241, v25
	v_fma_f32 v17, v38, v23, -v17
	v_fmac_f32_e32 v22, v240, v24
	v_mul_f32_e32 v23, v241, v24
	v_mul_f32_e32 v24, v243, v11
	v_fmac_f32_e32 v24, v242, v10
	v_mul_f32_e32 v10, v243, v10
	v_fma_f32 v23, v240, v25, -v23
	v_fma_f32 v25, v242, v11, -v10
	v_mul_f32_e32 v38, v237, v29
	v_mul_f32_e32 v10, v237, v28
	v_fmac_f32_e32 v38, v236, v28
	v_fma_f32 v28, v236, v29, -v10
	v_mul_f32_e32 v29, v239, v19
	v_mul_f32_e32 v10, v239, v18
	v_fmac_f32_e32 v29, v238, v18
	v_fma_f32 v18, v238, v19, -v10
	buffer_load_dword v43, off, s[24:27], 0 offset:308 ; 4-byte Folded Reload
	buffer_load_dword v44, off, s[24:27], 0 offset:312 ; 4-byte Folded Reload
	s_waitcnt vmcnt(2)
	v_mul_f32_e32 v19, v40, v34
	v_mul_f32_e32 v10, v40, v33
	v_fmac_f32_e32 v19, v39, v33
	v_fma_f32 v33, v39, v34, -v10
	v_mul_f32_e32 v10, v61, v26
	v_fma_f32 v39, v60, v27, -v10
	v_mul_f32_e32 v10, v63, v52
	v_mul_f32_e32 v34, v61, v27
	v_fma_f32 v27, v62, v53, -v10
	v_mul_f32_e32 v40, v205, v31
	v_mul_f32_e32 v10, v205, v30
	v_fmac_f32_e32 v40, v204, v30
	v_fma_f32 v30, v204, v31, -v10
	v_mul_f32_e32 v31, v207, v57
	v_mul_f32_e32 v10, v207, v56
	v_fmac_f32_e32 v31, v206, v56
	v_fma_f32 v41, v206, v57, -v10
	buffer_load_dword v56, off, s[24:27], 0 offset:332 ; 4-byte Folded Reload
	buffer_load_dword v57, off, s[24:27], 0 offset:336 ; 4-byte Folded Reload
	v_fmac_f32_e32 v34, v60, v26
	s_waitcnt vmcnt(2)
	v_mul_f32_e32 v42, v44, v36
	v_mul_f32_e32 v10, v44, v35
	v_fmac_f32_e32 v42, v43, v35
	v_fma_f32 v35, v43, v36, -v10
	v_mul_f32_e32 v10, v77, v64
	v_fma_f32 v44, v76, v65, -v10
	v_mul_f32_e32 v10, v79, v54
	v_mul_f32_e32 v26, v63, v53
	v_fma_f32 v46, v78, v55, -v10
	v_mul_f32_e32 v10, v73, v68
	v_fmac_f32_e32 v26, v62, v52
	v_fma_f32 v52, v72, v69, -v10
	v_mul_f32_e32 v10, v75, v58
	v_fma_f32 v54, v74, v59, -v10
	v_mul_f32_e32 v53, v75, v59
	v_mul_f32_e32 v59, v91, v13
	v_fmac_f32_e32 v53, v74, v58
	v_fmac_f32_e32 v59, v90, v12
	v_mul_f32_e32 v43, v77, v65
	v_fmac_f32_e32 v43, v76, v64
	v_mul_f32_e32 v63, v83, v21
	;; [unrolled: 2-line block ×3, first 2 shown]
	v_fmac_f32_e32 v61, v80, v70
	s_waitcnt vmcnt(0) lgkmcnt(0)
	v_mul_f32_e32 v55, v57, v85
	v_mul_f32_e32 v10, v57, v84
	v_fmac_f32_e32 v55, v56, v84
	v_fma_f32 v56, v56, v85, -v10
	v_mul_f32_e32 v10, v89, v66
	v_fma_f32 v58, v88, v67, -v10
	v_mul_f32_e32 v10, v91, v12
	buffer_load_dword v11, off, s[24:27], 0 offset:484 ; 4-byte Folded Reload
	buffer_load_dword v12, off, s[24:27], 0 offset:488 ; 4-byte Folded Reload
	v_fma_f32 v60, v90, v13, -v10
	v_mul_f32_e32 v10, v81, v70
	v_fma_f32 v62, v80, v71, -v10
	v_mul_f32_e32 v10, v83, v20
	v_mul_f32_e32 v57, v89, v67
	v_fma_f32 v64, v82, v21, -v10
	v_fmac_f32_e32 v57, v88, v66
	s_waitcnt vmcnt(0)
	s_barrier
	v_mul_f32_e32 v65, v12, v87
	v_mul_f32_e32 v10, v12, v86
	v_fmac_f32_e32 v65, v11, v86
	v_fma_f32 v66, v11, v87, -v10
	v_add_f32_e32 v11, v2, v14
	v_fma_f32 v11, -0.5, v11, v4
	v_add_f32_e32 v10, v4, v2
	v_sub_f32_e32 v4, v3, v15
	v_mov_b32_e32 v12, v11
	v_fmac_f32_e32 v12, 0xbf5db3d7, v4
	v_fmac_f32_e32 v11, 0x3f5db3d7, v4
	v_add_f32_e32 v4, v5, v3
	v_add_f32_e32 v3, v3, v15
	;; [unrolled: 1-line block ×3, first 2 shown]
	v_fma_f32 v15, -0.5, v3, v5
	v_sub_f32_e32 v2, v2, v14
	v_mov_b32_e32 v20, v15
	v_fmac_f32_e32 v20, 0x3f5db3d7, v2
	v_fmac_f32_e32 v15, 0xbf5db3d7, v2
	v_add_f32_e32 v2, v32, v8
	v_add_f32_e32 v10, v10, v14
	v_add_f32_e32 v14, v2, v16
	v_add_f32_e32 v2, v8, v16
	v_fmac_f32_e32 v32, -0.5, v2
	v_sub_f32_e32 v2, v9, v17
	v_mov_b32_e32 v5, v32
	v_fmac_f32_e32 v5, 0xbf5db3d7, v2
	v_fmac_f32_e32 v32, 0x3f5db3d7, v2
	v_add_f32_e32 v2, v37, v9
	v_add_f32_e32 v21, v2, v17
	v_add_f32_e32 v2, v9, v17
	v_fmac_f32_e32 v37, -0.5, v2
	v_sub_f32_e32 v2, v8, v16
	v_mov_b32_e32 v9, v37
	v_fmac_f32_e32 v9, 0x3f5db3d7, v2
	v_mul_f32_e32 v16, 0xbf5db3d7, v9
	v_fmac_f32_e32 v37, 0xbf5db3d7, v2
	v_fmac_f32_e32 v16, 0.5, v5
	v_add_f32_e32 v4, v12, v16
	v_mul_f32_e32 v17, 0xbf5db3d7, v37
	v_mul_f32_e32 v37, -0.5, v37
	v_sub_f32_e32 v12, v12, v16
	v_add_f32_e32 v16, v6, v24
	v_fmac_f32_e32 v17, -0.5, v32
	v_mul_f32_e32 v36, 0.5, v9
	v_fmac_f32_e32 v37, 0x3f5db3d7, v32
	v_add_f32_e32 v32, v16, v29
	v_add_f32_e32 v16, v24, v29
	v_fmac_f32_e32 v36, 0x3f5db3d7, v5
	v_fma_f32 v6, -0.5, v16, v6
	v_add_f32_e32 v2, v10, v14
	v_add_f32_e32 v8, v11, v17
	;; [unrolled: 1-line block ×4, first 2 shown]
	v_sub_f32_e32 v10, v10, v14
	v_sub_f32_e32 v14, v11, v17
	;; [unrolled: 1-line block ×5, first 2 shown]
	v_mov_b32_e32 v36, v6
	v_fmac_f32_e32 v36, 0xbf5db3d7, v16
	v_fmac_f32_e32 v6, 0x3f5db3d7, v16
	v_add_f32_e32 v16, v7, v25
	v_add_f32_e32 v9, v15, v37
	v_sub_f32_e32 v15, v15, v37
	v_add_f32_e32 v37, v16, v18
	v_add_f32_e32 v16, v25, v18
	v_fmac_f32_e32 v7, -0.5, v16
	v_sub_f32_e32 v16, v24, v29
	v_mov_b32_e32 v25, v7
	v_fmac_f32_e32 v25, 0x3f5db3d7, v16
	v_fmac_f32_e32 v7, 0xbf5db3d7, v16
	v_add_f32_e32 v16, v22, v38
	v_add_f32_e32 v24, v16, v19
	;; [unrolled: 1-line block ×3, first 2 shown]
	v_fmac_f32_e32 v22, -0.5, v16
	v_sub_f32_e32 v16, v28, v33
	v_mov_b32_e32 v21, v22
	v_fmac_f32_e32 v21, 0xbf5db3d7, v16
	v_fmac_f32_e32 v22, 0x3f5db3d7, v16
	v_add_f32_e32 v16, v23, v28
	v_add_f32_e32 v29, v16, v33
	;; [unrolled: 1-line block ×3, first 2 shown]
	v_fmac_f32_e32 v23, -0.5, v16
	v_sub_f32_e32 v16, v38, v19
	v_mov_b32_e32 v19, v23
	v_fmac_f32_e32 v19, 0x3f5db3d7, v16
	v_fmac_f32_e32 v23, 0xbf5db3d7, v16
	v_mul_f32_e32 v28, 0xbf5db3d7, v19
	v_fmac_f32_e32 v28, 0.5, v21
	v_mul_f32_e32 v33, 0xbf5db3d7, v23
	v_mul_f32_e32 v67, -0.5, v23
	v_add_f32_e32 v16, v32, v24
	v_add_f32_e32 v18, v36, v28
	v_fmac_f32_e32 v33, -0.5, v22
	v_fmac_f32_e32 v67, 0x3f5db3d7, v22
	v_sub_f32_e32 v22, v32, v24
	v_sub_f32_e32 v24, v36, v28
	v_add_f32_e32 v28, v48, v26
	v_add_f32_e32 v32, v28, v31
	;; [unrolled: 1-line block ×4, first 2 shown]
	v_sub_f32_e32 v6, v6, v33
	v_fma_f32 v33, -0.5, v28, v48
	v_mul_f32_e32 v38, 0.5, v19
	v_sub_f32_e32 v28, v27, v41
	v_mov_b32_e32 v36, v33
	v_fmac_f32_e32 v38, 0x3f5db3d7, v21
	v_fmac_f32_e32 v36, 0xbf5db3d7, v28
	v_fmac_f32_e32 v33, 0x3f5db3d7, v28
	v_add_f32_e32 v28, v49, v27
	v_add_f32_e32 v27, v27, v41
	;; [unrolled: 1-line block ×3, first 2 shown]
	v_sub_f32_e32 v25, v25, v38
	v_fma_f32 v38, -0.5, v27, v49
	v_add_f32_e32 v17, v37, v29
	v_sub_f32_e32 v23, v37, v29
	v_add_f32_e32 v37, v28, v41
	v_sub_f32_e32 v26, v26, v31
	v_mov_b32_e32 v41, v38
	v_fmac_f32_e32 v41, 0x3f5db3d7, v26
	v_fmac_f32_e32 v38, 0xbf5db3d7, v26
	v_add_f32_e32 v26, v34, v40
	v_add_f32_e32 v48, v26, v42
	;; [unrolled: 1-line block ×3, first 2 shown]
	v_fmac_f32_e32 v34, -0.5, v26
	v_sub_f32_e32 v26, v30, v35
	v_mov_b32_e32 v29, v34
	v_fmac_f32_e32 v29, 0xbf5db3d7, v26
	v_fmac_f32_e32 v34, 0x3f5db3d7, v26
	v_add_f32_e32 v26, v39, v30
	v_add_f32_e32 v49, v26, v35
	;; [unrolled: 1-line block ×3, first 2 shown]
	v_fmac_f32_e32 v39, -0.5, v26
	v_sub_f32_e32 v26, v40, v42
	v_mov_b32_e32 v31, v39
	v_fmac_f32_e32 v31, 0x3f5db3d7, v26
	v_fmac_f32_e32 v39, 0xbf5db3d7, v26
	v_mul_f32_e32 v35, 0xbf5db3d7, v31
	v_mul_f32_e32 v40, 0xbf5db3d7, v39
	v_mul_f32_e32 v39, -0.5, v39
	v_fmac_f32_e32 v35, 0.5, v29
	v_fmac_f32_e32 v40, -0.5, v34
	v_fmac_f32_e32 v39, 0x3f5db3d7, v34
	v_add_f32_e32 v28, v36, v35
	v_add_f32_e32 v30, v33, v40
	;; [unrolled: 1-line block ×3, first 2 shown]
	v_mul_f32_e32 v42, 0.5, v31
	v_add_f32_e32 v31, v38, v39
	v_sub_f32_e32 v34, v36, v35
	v_sub_f32_e32 v36, v33, v40
	;; [unrolled: 1-line block ×4, first 2 shown]
	v_add_f32_e32 v38, v50, v45
	v_add_f32_e32 v26, v32, v48
	v_sub_f32_e32 v32, v32, v48
	v_add_f32_e32 v48, v38, v53
	v_add_f32_e32 v38, v45, v53
	v_fma_f32 v49, -0.5, v38, v50
	v_sub_f32_e32 v38, v46, v54
	v_mov_b32_e32 v50, v49
	v_fmac_f32_e32 v50, 0xbf5db3d7, v38
	v_fmac_f32_e32 v49, 0x3f5db3d7, v38
	v_add_f32_e32 v38, v51, v46
	v_add_f32_e32 v21, v7, v67
	v_sub_f32_e32 v7, v7, v67
	v_add_f32_e32 v67, v38, v54
	v_add_f32_e32 v38, v46, v54
	v_fmac_f32_e32 v51, -0.5, v38
	v_sub_f32_e32 v38, v45, v53
	v_mov_b32_e32 v53, v51
	v_fmac_f32_e32 v53, 0x3f5db3d7, v38
	v_fmac_f32_e32 v51, 0xbf5db3d7, v38
	v_add_f32_e32 v38, v43, v47
	v_add_f32_e32 v45, v38, v55
	;; [unrolled: 1-line block ×3, first 2 shown]
	v_fmac_f32_e32 v42, 0x3f5db3d7, v29
	v_fmac_f32_e32 v43, -0.5, v38
	v_add_f32_e32 v29, v41, v42
	v_sub_f32_e32 v35, v41, v42
	v_sub_f32_e32 v38, v52, v56
	v_mov_b32_e32 v41, v43
	v_fmac_f32_e32 v41, 0xbf5db3d7, v38
	v_fmac_f32_e32 v43, 0x3f5db3d7, v38
	v_add_f32_e32 v38, v44, v52
	v_add_f32_e32 v54, v38, v56
	;; [unrolled: 1-line block ×3, first 2 shown]
	v_fmac_f32_e32 v44, -0.5, v38
	v_sub_f32_e32 v38, v47, v55
	v_mov_b32_e32 v46, v44
	v_fmac_f32_e32 v46, 0x3f5db3d7, v38
	v_fmac_f32_e32 v44, 0xbf5db3d7, v38
	v_mul_f32_e32 v47, 0xbf5db3d7, v46
	v_fmac_f32_e32 v47, 0.5, v41
	v_mul_f32_e32 v52, 0xbf5db3d7, v44
	v_mul_f32_e32 v56, -0.5, v44
	v_add_f32_e32 v40, v50, v47
	v_fmac_f32_e32 v52, -0.5, v43
	v_mul_f32_e32 v55, 0.5, v46
	v_fmac_f32_e32 v56, 0x3f5db3d7, v43
	v_sub_f32_e32 v46, v50, v47
	v_add_f32_e32 v50, v0, v59
	v_add_f32_e32 v38, v48, v45
	;; [unrolled: 1-line block ×4, first 2 shown]
	v_sub_f32_e32 v44, v48, v45
	v_sub_f32_e32 v48, v49, v52
	;; [unrolled: 1-line block ×3, first 2 shown]
	v_add_f32_e32 v56, v50, v63
	v_add_f32_e32 v50, v59, v63
	v_fma_f32 v0, -0.5, v50, v0
	v_add_f32_e32 v39, v67, v54
	v_sub_f32_e32 v45, v67, v54
	v_sub_f32_e32 v50, v60, v64
	v_mov_b32_e32 v67, v0
	v_fmac_f32_e32 v67, 0xbf5db3d7, v50
	v_fmac_f32_e32 v0, 0x3f5db3d7, v50
	v_add_f32_e32 v50, v1, v60
	v_add_f32_e32 v68, v50, v64
	;; [unrolled: 1-line block ×3, first 2 shown]
	v_fmac_f32_e32 v1, -0.5, v50
	v_sub_f32_e32 v50, v59, v63
	v_mov_b32_e32 v59, v1
	v_fmac_f32_e32 v59, 0x3f5db3d7, v50
	v_fmac_f32_e32 v1, 0xbf5db3d7, v50
	v_add_f32_e32 v50, v57, v61
	v_add_f32_e32 v60, v50, v65
	;; [unrolled: 1-line block ×3, first 2 shown]
	v_fmac_f32_e32 v55, 0x3f5db3d7, v41
	v_fmac_f32_e32 v57, -0.5, v50
	v_add_f32_e32 v41, v53, v55
	v_sub_f32_e32 v47, v53, v55
	v_sub_f32_e32 v50, v62, v66
	v_mov_b32_e32 v53, v57
	v_fmac_f32_e32 v53, 0xbf5db3d7, v50
	v_fmac_f32_e32 v57, 0x3f5db3d7, v50
	v_add_f32_e32 v50, v58, v62
	v_add_f32_e32 v63, v50, v66
	;; [unrolled: 1-line block ×3, first 2 shown]
	v_fmac_f32_e32 v58, -0.5, v50
	v_sub_f32_e32 v50, v61, v65
	v_mov_b32_e32 v55, v58
	v_fmac_f32_e32 v55, 0x3f5db3d7, v50
	v_fmac_f32_e32 v58, 0xbf5db3d7, v50
	v_add_f32_e32 v50, v56, v60
	v_sub_f32_e32 v56, v56, v60
	buffer_load_dword v60, off, s[24:27], 0 offset:400 ; 4-byte Folded Reload
	v_mul_f32_e32 v61, 0xbf5db3d7, v55
	v_mul_f32_e32 v64, 0.5, v55
	v_fmac_f32_e32 v61, 0.5, v53
	v_fmac_f32_e32 v64, 0x3f5db3d7, v53
	v_add_f32_e32 v52, v67, v61
	v_add_f32_e32 v51, v68, v63
	v_add_f32_e32 v53, v59, v64
	v_mul_f32_e32 v62, 0xbf5db3d7, v58
	v_mul_f32_e32 v65, -0.5, v58
	v_fmac_f32_e32 v62, -0.5, v57
	v_fmac_f32_e32 v65, 0x3f5db3d7, v57
	v_add_f32_e32 v54, v0, v62
	v_add_f32_e32 v55, v1, v65
	v_sub_f32_e32 v57, v68, v63
	v_sub_f32_e32 v58, v67, v61
	;; [unrolled: 1-line block ×5, first 2 shown]
	s_waitcnt vmcnt(0)
	ds_write2_b64 v60, v[2:3], v[4:5] offset1:90
	buffer_load_dword v2, off, s[24:27], 0 offset:392 ; 4-byte Folded Reload
	s_waitcnt vmcnt(0)
	ds_write2_b64 v2, v[8:9], v[10:11] offset0:52 offset1:142
	buffer_load_dword v2, off, s[24:27], 0 offset:396 ; 4-byte Folded Reload
	s_waitcnt vmcnt(0)
	ds_write2_b64 v2, v[12:13], v[14:15] offset0:104 offset1:194
	buffer_load_dword v2, off, s[24:27], 0 offset:412 ; 4-byte Folded Reload
	s_waitcnt vmcnt(0)
	ds_write2_b64 v2, v[16:17], v[18:19] offset1:90
	buffer_load_dword v2, off, s[24:27], 0 offset:404 ; 4-byte Folded Reload
	s_waitcnt vmcnt(0)
	ds_write2_b64 v2, v[20:21], v[22:23] offset0:52 offset1:142
	buffer_load_dword v2, off, s[24:27], 0 offset:408 ; 4-byte Folded Reload
	s_waitcnt vmcnt(0)
	ds_write2_b64 v2, v[24:25], v[6:7] offset0:104 offset1:194
	buffer_load_dword v2, off, s[24:27], 0 offset:424 ; 4-byte Folded Reload
	;; [unrolled: 9-line block ×4, first 2 shown]
	s_waitcnt vmcnt(0)
	ds_write2_b64 v2, v[50:51], v[52:53] offset1:90
	buffer_load_dword v2, off, s[24:27], 0 offset:440 ; 4-byte Folded Reload
	s_waitcnt vmcnt(0)
	ds_write2_b64 v2, v[54:55], v[56:57] offset0:52 offset1:142
	buffer_load_dword v2, off, s[24:27], 0 offset:444 ; 4-byte Folded Reload
	s_waitcnt vmcnt(0)
	ds_write2_b64 v2, v[58:59], v[0:1] offset0:104 offset1:194
	s_waitcnt lgkmcnt(0)
	s_barrier
	ds_read2_b64 v[0:3], v200 offset1:108
	ds_read2_b64 v[4:7], v203 offset0:48 offset1:156
	ds_read2_b64 v[8:11], v230 offset0:56 offset1:164
	;; [unrolled: 1-line block ×14, first 2 shown]
	buffer_load_dword v62, off, s[24:27], 0 offset:460 ; 4-byte Folded Reload
	buffer_load_dword v63, off, s[24:27], 0 offset:464 ; 4-byte Folded Reload
	s_waitcnt lgkmcnt(13)
	v_mul_f32_e32 v32, v133, v7
	v_fmac_f32_e32 v32, v132, v6
	v_mul_f32_e32 v6, v133, v6
	v_fma_f32 v61, v132, v7, -v6
	s_waitcnt lgkmcnt(12)
	v_mul_f32_e32 v6, v135, v9
	v_mul_f32_e32 v7, v135, v8
	v_fmac_f32_e32 v6, v134, v8
	v_fma_f32 v7, v134, v9, -v7
	s_waitcnt lgkmcnt(11)
	v_mul_f32_e32 v8, v129, v15
	v_mul_f32_e32 v9, v129, v14
	v_fmac_f32_e32 v8, v128, v14
	v_fma_f32 v9, v128, v15, -v9
	s_waitcnt lgkmcnt(10)
	v_mul_f32_e32 v14, v131, v17
	v_mul_f32_e32 v15, v131, v16
	v_fmac_f32_e32 v14, v130, v16
	v_fma_f32 v15, v130, v17, -v15
	s_waitcnt vmcnt(0) lgkmcnt(9)
	v_mul_f32_e32 v16, v63, v23
	v_mul_f32_e32 v17, v63, v22
	buffer_load_dword v63, off, s[24:27], 0 offset:476 ; 4-byte Folded Reload
	buffer_load_dword v64, off, s[24:27], 0 offset:480 ; 4-byte Folded Reload
	v_fmac_f32_e32 v16, v62, v22
	s_waitcnt lgkmcnt(8)
	v_mul_f32_e32 v22, v141, v25
	v_fma_f32 v17, v62, v23, -v17
	v_fmac_f32_e32 v22, v140, v24
	v_mul_f32_e32 v23, v141, v24
	v_mul_f32_e32 v24, v143, v11
	v_fmac_f32_e32 v24, v142, v10
	v_mul_f32_e32 v10, v143, v10
	v_fma_f32 v23, v140, v25, -v23
	v_fma_f32 v25, v142, v11, -v10
	s_waitcnt lgkmcnt(7)
	v_mul_f32_e32 v62, v137, v29
	v_mul_f32_e32 v10, v137, v28
	v_fmac_f32_e32 v62, v136, v28
	v_fma_f32 v28, v136, v29, -v10
	v_mul_f32_e32 v29, v139, v19
	v_mul_f32_e32 v10, v139, v18
	v_fmac_f32_e32 v29, v138, v18
	v_fma_f32 v18, v138, v19, -v10
	s_waitcnt vmcnt(0) lgkmcnt(6)
	v_mul_f32_e32 v19, v64, v34
	v_mul_f32_e32 v10, v64, v33
	buffer_load_dword v64, off, s[24:27], 0 offset:492 ; 4-byte Folded Reload
	buffer_load_dword v65, off, s[24:27], 0 offset:496 ; 4-byte Folded Reload
	v_fmac_f32_e32 v19, v63, v33
	v_fma_f32 v33, v63, v34, -v10
	v_mul_f32_e32 v34, v149, v27
	v_mul_f32_e32 v10, v149, v26
	v_fmac_f32_e32 v34, v148, v26
	v_fma_f32 v63, v148, v27, -v10
	s_waitcnt lgkmcnt(4)
	v_mul_f32_e32 v26, v151, v42
	v_mul_f32_e32 v10, v151, v41
	v_fmac_f32_e32 v26, v150, v41
	v_fma_f32 v27, v150, v42, -v10
	v_mul_f32_e32 v41, v145, v31
	v_mul_f32_e32 v10, v145, v30
	v_fmac_f32_e32 v41, v144, v30
	v_fma_f32 v30, v144, v31, -v10
	s_waitcnt lgkmcnt(3)
	v_mul_f32_e32 v31, v147, v46
	v_mul_f32_e32 v10, v147, v45
	v_fmac_f32_e32 v31, v146, v45
	v_fma_f32 v42, v146, v46, -v10
	s_waitcnt lgkmcnt(2)
	v_mul_f32_e32 v46, v157, v50
	v_fmac_f32_e32 v46, v156, v49
	s_waitcnt vmcnt(0)
	v_mul_f32_e32 v45, v65, v36
	v_mul_f32_e32 v10, v65, v35
	v_fmac_f32_e32 v45, v64, v35
	v_fma_f32 v35, v64, v36, -v10
	buffer_load_dword v64, off, s[24:27], 0 offset:500 ; 4-byte Folded Reload
	buffer_load_dword v65, off, s[24:27], 0 offset:504 ; 4-byte Folded Reload
	v_mul_f32_e32 v10, v157, v49
	v_fma_f32 v49, v156, v50, -v10
	v_mul_f32_e32 v50, v159, v44
	v_mul_f32_e32 v10, v159, v43
	v_fmac_f32_e32 v50, v158, v43
	v_fma_f32 v43, v158, v44, -v10
	s_waitcnt lgkmcnt(1)
	v_mul_f32_e32 v44, v153, v54
	v_mul_f32_e32 v10, v153, v53
	v_fmac_f32_e32 v44, v152, v53
	v_fma_f32 v53, v152, v54, -v10
	v_mul_f32_e32 v54, v155, v48
	v_mul_f32_e32 v10, v155, v47
	v_fmac_f32_e32 v54, v154, v47
	v_fma_f32 v47, v154, v48, -v10
	s_waitcnt vmcnt(0) lgkmcnt(0)
	v_mul_f32_e32 v48, v65, v58
	v_mul_f32_e32 v10, v65, v57
	v_fmac_f32_e32 v48, v64, v57
	v_fma_f32 v57, v64, v58, -v10
	v_mul_f32_e32 v58, v165, v52
	v_fmac_f32_e32 v58, v164, v51
	v_mul_f32_e32 v10, v165, v51
	v_mul_f32_e32 v51, v167, v13
	v_fma_f32 v64, v164, v52, -v10
	v_fmac_f32_e32 v51, v166, v12
	v_mul_f32_e32 v10, v167, v12
	buffer_load_dword v11, off, s[24:27], 0 offset:508 ; 4-byte Folded Reload
	buffer_load_dword v12, off, s[24:27], 0 offset:512 ; 4-byte Folded Reload
	v_fma_f32 v52, v166, v13, -v10
	v_mul_f32_e32 v65, v161, v56
	v_mul_f32_e32 v10, v161, v55
	v_fmac_f32_e32 v65, v160, v55
	v_fma_f32 v55, v160, v56, -v10
	v_mul_f32_e32 v10, v163, v20
	v_fma_f32 v66, v162, v21, -v10
	v_mul_f32_e32 v56, v163, v21
	v_fmac_f32_e32 v56, v162, v20
	s_waitcnt vmcnt(0)
	v_mul_f32_e32 v67, v12, v60
	v_mul_f32_e32 v10, v12, v59
	v_fmac_f32_e32 v67, v11, v59
	v_fma_f32 v59, v11, v60, -v10
	v_add_f32_e32 v11, v6, v14
	v_fma_f32 v11, -0.5, v11, v0
	v_add_f32_e32 v10, v0, v6
	v_sub_f32_e32 v0, v7, v15
	v_mov_b32_e32 v12, v11
	v_fmac_f32_e32 v12, 0xbf5db3d7, v0
	v_fmac_f32_e32 v11, 0x3f5db3d7, v0
	v_add_f32_e32 v0, v1, v7
	v_add_f32_e32 v13, v0, v15
	;; [unrolled: 1-line block ×3, first 2 shown]
	v_fma_f32 v15, -0.5, v0, v1
	v_sub_f32_e32 v0, v6, v14
	v_mov_b32_e32 v20, v15
	v_fmac_f32_e32 v20, 0x3f5db3d7, v0
	v_fmac_f32_e32 v15, 0xbf5db3d7, v0
	v_add_f32_e32 v0, v32, v8
	v_add_f32_e32 v10, v10, v14
	;; [unrolled: 1-line block ×4, first 2 shown]
	v_fmac_f32_e32 v32, -0.5, v0
	v_sub_f32_e32 v0, v9, v17
	v_mov_b32_e32 v7, v32
	v_fmac_f32_e32 v7, 0xbf5db3d7, v0
	v_fmac_f32_e32 v32, 0x3f5db3d7, v0
	v_add_f32_e32 v0, v61, v9
	v_add_f32_e32 v21, v0, v17
	;; [unrolled: 1-line block ×3, first 2 shown]
	v_fmac_f32_e32 v61, -0.5, v0
	v_sub_f32_e32 v0, v8, v16
	v_mov_b32_e32 v9, v61
	v_fmac_f32_e32 v9, 0x3f5db3d7, v0
	v_mul_f32_e32 v16, 0xbf5db3d7, v9
	v_fmac_f32_e32 v61, 0xbf5db3d7, v0
	v_fmac_f32_e32 v16, 0.5, v7
	v_add_f32_e32 v6, v12, v16
	v_mul_f32_e32 v17, 0xbf5db3d7, v61
	v_mul_f32_e32 v60, -0.5, v61
	v_sub_f32_e32 v12, v12, v16
	v_add_f32_e32 v16, v2, v24
	v_fmac_f32_e32 v17, -0.5, v32
	v_mul_f32_e32 v36, 0.5, v9
	v_fmac_f32_e32 v60, 0x3f5db3d7, v32
	v_add_f32_e32 v32, v16, v29
	v_add_f32_e32 v16, v24, v29
	v_fmac_f32_e32 v36, 0x3f5db3d7, v7
	v_fma_f32 v2, -0.5, v16, v2
	v_add_f32_e32 v0, v10, v14
	v_add_f32_e32 v8, v11, v17
	;; [unrolled: 1-line block ×4, first 2 shown]
	v_sub_f32_e32 v10, v10, v14
	v_sub_f32_e32 v14, v11, v17
	;; [unrolled: 1-line block ×5, first 2 shown]
	v_mov_b32_e32 v36, v2
	v_fmac_f32_e32 v36, 0xbf5db3d7, v16
	v_fmac_f32_e32 v2, 0x3f5db3d7, v16
	v_add_f32_e32 v16, v3, v25
	v_add_f32_e32 v9, v15, v60
	v_sub_f32_e32 v15, v15, v60
	v_add_f32_e32 v60, v16, v18
	v_add_f32_e32 v16, v25, v18
	v_fmac_f32_e32 v3, -0.5, v16
	v_sub_f32_e32 v16, v24, v29
	v_mov_b32_e32 v25, v3
	v_fmac_f32_e32 v25, 0x3f5db3d7, v16
	v_fmac_f32_e32 v3, 0xbf5db3d7, v16
	v_add_f32_e32 v16, v22, v62
	v_add_f32_e32 v24, v16, v19
	;; [unrolled: 1-line block ×3, first 2 shown]
	v_fmac_f32_e32 v22, -0.5, v16
	v_sub_f32_e32 v16, v28, v33
	v_mov_b32_e32 v21, v22
	v_fmac_f32_e32 v21, 0xbf5db3d7, v16
	v_fmac_f32_e32 v22, 0x3f5db3d7, v16
	v_add_f32_e32 v16, v23, v28
	v_add_f32_e32 v29, v16, v33
	;; [unrolled: 1-line block ×3, first 2 shown]
	v_fmac_f32_e32 v23, -0.5, v16
	v_sub_f32_e32 v16, v62, v19
	v_mov_b32_e32 v19, v23
	v_fmac_f32_e32 v19, 0x3f5db3d7, v16
	v_fmac_f32_e32 v23, 0xbf5db3d7, v16
	v_mul_f32_e32 v28, 0xbf5db3d7, v19
	v_fmac_f32_e32 v28, 0.5, v21
	v_mul_f32_e32 v33, 0xbf5db3d7, v23
	v_mul_f32_e32 v62, -0.5, v23
	v_add_f32_e32 v16, v32, v24
	v_add_f32_e32 v18, v36, v28
	v_fmac_f32_e32 v33, -0.5, v22
	v_fmac_f32_e32 v62, 0x3f5db3d7, v22
	v_sub_f32_e32 v22, v32, v24
	v_sub_f32_e32 v24, v36, v28
	v_add_f32_e32 v28, v37, v26
	v_add_f32_e32 v32, v28, v31
	;; [unrolled: 1-line block ×4, first 2 shown]
	v_sub_f32_e32 v2, v2, v33
	v_fma_f32 v33, -0.5, v28, v37
	v_sub_f32_e32 v28, v27, v42
	v_mov_b32_e32 v36, v33
	v_fmac_f32_e32 v36, 0xbf5db3d7, v28
	v_fmac_f32_e32 v33, 0x3f5db3d7, v28
	v_add_f32_e32 v28, v38, v27
	v_add_f32_e32 v27, v27, v42
	v_fma_f32 v38, -0.5, v27, v38
	v_add_f32_e32 v37, v28, v42
	v_sub_f32_e32 v26, v26, v31
	v_mov_b32_e32 v42, v38
	v_fmac_f32_e32 v42, 0x3f5db3d7, v26
	v_fmac_f32_e32 v38, 0xbf5db3d7, v26
	v_add_f32_e32 v26, v34, v41
	v_add_f32_e32 v17, v60, v29
	v_sub_f32_e32 v23, v60, v29
	v_add_f32_e32 v60, v26, v45
	v_add_f32_e32 v26, v41, v45
	v_fmac_f32_e32 v34, -0.5, v26
	v_mul_f32_e32 v61, 0.5, v19
	v_sub_f32_e32 v26, v30, v35
	v_mov_b32_e32 v29, v34
	v_fmac_f32_e32 v61, 0x3f5db3d7, v21
	v_fmac_f32_e32 v29, 0xbf5db3d7, v26
	;; [unrolled: 1-line block ×3, first 2 shown]
	v_add_f32_e32 v26, v63, v30
	v_add_f32_e32 v19, v25, v61
	v_sub_f32_e32 v25, v25, v61
	v_add_f32_e32 v61, v26, v35
	v_add_f32_e32 v26, v30, v35
	v_fmac_f32_e32 v63, -0.5, v26
	v_sub_f32_e32 v26, v41, v45
	v_mov_b32_e32 v31, v63
	v_fmac_f32_e32 v31, 0x3f5db3d7, v26
	v_fmac_f32_e32 v63, 0xbf5db3d7, v26
	v_add_f32_e32 v21, v3, v62
	v_sub_f32_e32 v3, v3, v62
	v_mul_f32_e32 v35, 0xbf5db3d7, v31
	v_mul_f32_e32 v41, 0xbf5db3d7, v63
	v_mul_f32_e32 v62, -0.5, v63
	v_fmac_f32_e32 v35, 0.5, v29
	v_fmac_f32_e32 v41, -0.5, v34
	v_mul_f32_e32 v45, 0.5, v31
	v_fmac_f32_e32 v62, 0x3f5db3d7, v34
	v_add_f32_e32 v28, v36, v35
	v_add_f32_e32 v30, v33, v41
	;; [unrolled: 1-line block ×3, first 2 shown]
	v_fmac_f32_e32 v45, 0x3f5db3d7, v29
	v_add_f32_e32 v31, v38, v62
	v_sub_f32_e32 v34, v36, v35
	v_sub_f32_e32 v36, v33, v41
	;; [unrolled: 1-line block ×4, first 2 shown]
	v_add_f32_e32 v38, v39, v50
	v_add_f32_e32 v29, v42, v45
	v_sub_f32_e32 v35, v42, v45
	v_add_f32_e32 v45, v38, v54
	v_add_f32_e32 v38, v50, v54
	;; [unrolled: 1-line block ×3, first 2 shown]
	v_sub_f32_e32 v32, v32, v60
	v_fma_f32 v60, -0.5, v38, v39
	v_sub_f32_e32 v38, v43, v47
	v_mov_b32_e32 v61, v60
	v_fmac_f32_e32 v61, 0xbf5db3d7, v38
	v_fmac_f32_e32 v60, 0x3f5db3d7, v38
	v_add_f32_e32 v38, v40, v43
	v_add_f32_e32 v62, v38, v47
	v_add_f32_e32 v38, v43, v47
	v_fmac_f32_e32 v40, -0.5, v38
	v_sub_f32_e32 v38, v50, v54
	v_mov_b32_e32 v50, v40
	v_fmac_f32_e32 v50, 0x3f5db3d7, v38
	v_fmac_f32_e32 v40, 0xbf5db3d7, v38
	v_add_f32_e32 v38, v46, v44
	v_add_f32_e32 v47, v38, v48
	v_add_f32_e32 v38, v44, v48
	v_fmac_f32_e32 v46, -0.5, v38
	;; [unrolled: 8-line block ×3, first 2 shown]
	v_sub_f32_e32 v38, v44, v48
	v_mov_b32_e32 v44, v49
	v_fmac_f32_e32 v49, 0xbf5db3d7, v38
	v_fmac_f32_e32 v44, 0x3f5db3d7, v38
	v_mul_f32_e32 v53, 0xbf5db3d7, v49
	v_mul_f32_e32 v48, 0xbf5db3d7, v44
	v_fmac_f32_e32 v53, -0.5, v46
	v_mul_f32_e32 v57, 0.5, v44
	v_mul_f32_e32 v63, -0.5, v49
	v_fmac_f32_e32 v48, 0.5, v42
	v_add_f32_e32 v43, v60, v53
	v_fmac_f32_e32 v57, 0x3f5db3d7, v42
	v_fmac_f32_e32 v63, 0x3f5db3d7, v46
	v_sub_f32_e32 v49, v60, v53
	v_add_f32_e32 v53, v51, v56
	v_add_f32_e32 v38, v45, v47
	v_add_f32_e32 v41, v61, v48
	v_add_f32_e32 v42, v50, v57
	v_add_f32_e32 v44, v40, v63
	v_sub_f32_e32 v45, v45, v47
	v_sub_f32_e32 v47, v61, v48
	;; [unrolled: 1-line block ×4, first 2 shown]
	v_add_f32_e32 v40, v4, v51
	v_fma_f32 v4, -0.5, v53, v4
	v_sub_f32_e32 v53, v52, v66
	v_mov_b32_e32 v60, v4
	v_fmac_f32_e32 v60, 0xbf5db3d7, v53
	v_fmac_f32_e32 v4, 0x3f5db3d7, v53
	v_add_f32_e32 v53, v5, v52
	v_add_f32_e32 v52, v52, v66
	v_fmac_f32_e32 v5, -0.5, v52
	v_add_f32_e32 v39, v62, v54
	v_sub_f32_e32 v46, v62, v54
	v_sub_f32_e32 v51, v51, v56
	v_mov_b32_e32 v62, v5
	v_fmac_f32_e32 v62, 0x3f5db3d7, v51
	v_fmac_f32_e32 v5, 0xbf5db3d7, v51
	v_add_f32_e32 v51, v58, v65
	v_add_f32_e32 v57, v51, v67
	v_add_f32_e32 v51, v65, v67
	v_fmac_f32_e32 v58, -0.5, v51
	v_sub_f32_e32 v51, v55, v59
	v_mov_b32_e32 v54, v58
	v_fmac_f32_e32 v54, 0xbf5db3d7, v51
	v_fmac_f32_e32 v58, 0x3f5db3d7, v51
	v_add_f32_e32 v51, v64, v55
	v_add_f32_e32 v63, v51, v59
	;; [unrolled: 1-line block ×3, first 2 shown]
	v_fmac_f32_e32 v64, -0.5, v51
	v_sub_f32_e32 v51, v65, v67
	v_add_f32_e32 v40, v40, v56
	v_mov_b32_e32 v56, v64
	v_fmac_f32_e32 v64, 0xbf5db3d7, v51
	v_fmac_f32_e32 v56, 0x3f5db3d7, v51
	v_mul_f32_e32 v65, 0xbf5db3d7, v64
	v_mul_f32_e32 v64, -0.5, v64
	v_add_f32_e32 v61, v53, v66
	v_mul_f32_e32 v59, 0xbf5db3d7, v56
	v_mul_f32_e32 v66, 0.5, v56
	v_fmac_f32_e32 v64, 0x3f5db3d7, v58
	v_fmac_f32_e32 v59, 0.5, v54
	v_fmac_f32_e32 v65, -0.5, v58
	v_fmac_f32_e32 v66, 0x3f5db3d7, v54
	v_add_f32_e32 v56, v5, v64
	v_sub_f32_e32 v5, v5, v64
	v_add_f32_e32 v51, v40, v57
	v_add_f32_e32 v53, v60, v59
	;; [unrolled: 1-line block ×5, first 2 shown]
	v_sub_f32_e32 v57, v40, v57
	v_sub_f32_e32 v59, v60, v59
	;; [unrolled: 1-line block ×5, first 2 shown]
	ds_write_b64 v200, v[6:7] offset:4320
	ds_write_b64 v200, v[8:9] offset:8640
	ds_write_b64 v200, v[10:11] offset:12960
	ds_write_b64 v200, v[12:13] offset:17280
	ds_write_b64 v200, v[14:15] offset:21600
	ds_write2_b64 v200, v[0:1], v[16:17] offset1:108
	ds_write_b64 v200, v[20:21] offset:9504
	ds_write_b64 v200, v[24:25] offset:18144
	ds_write2_b64 v194, v[18:19], v[28:29] offset0:136 offset1:244
	ds_write2_b64 v201, v[22:23], v[32:33] offset0:64 offset1:172
	;; [unrolled: 1-line block ×5, first 2 shown]
	ds_write_b64 v200, v[45:46] offset:15552
	ds_write2_b64 v225, v[34:35], v[47:48] offset0:72 offset1:180
	ds_write_b64 v200, v[49:50] offset:24192
	ds_write_b64 v200, v[51:52] offset:3456
	ds_write2_b64 v103, v[41:42], v[53:54] offset0:96 offset1:204
	ds_write_b64 v200, v[55:56] offset:12096
	ds_write_b64 v200, v[57:58] offset:16416
	;; [unrolled: 1-line block ×4, first 2 shown]
	s_waitcnt lgkmcnt(0)
	s_barrier
	ds_read2_b64 v[0:3], v200 offset1:108
	buffer_load_dword v5, off, s[24:27], 0 offset:232 ; 4-byte Folded Reload
	buffer_load_dword v6, off, s[24:27], 0 offset:236 ; 4-byte Folded Reload
	v_mov_b32_e32 v8, s13
	s_waitcnt vmcnt(0) lgkmcnt(0)
	v_mul_f32_e32 v4, v6, v1
	v_mov_b32_e32 v7, v6
	v_fmac_f32_e32 v4, v5, v0
	v_mov_b32_e32 v6, v5
	v_mul_f32_e32 v0, v7, v0
	v_fma_f32 v0, v6, v1, -v0
	buffer_load_dword v6, off, s[24:27], 0 offset:388 ; 4-byte Folded Reload
	v_cvt_f64_f32_e32 v[4:5], v4
	v_cvt_f64_f32_e32 v[0:1], v0
	v_mul_f64 v[4:5], v[4:5], s[2:3]
	v_mul_f64 v[0:1], v[0:1], s[2:3]
	v_cvt_f32_f64_e32 v4, v[4:5]
	v_cvt_f32_f64_e32 v5, v[0:1]
	s_waitcnt vmcnt(0)
	v_mad_u64_u32 v[0:1], s[4:5], s0, v6, 0
	v_mad_u64_u32 v[6:7], s[4:5], s1, v6, v[1:2]
	s_mul_i32 s4, s1, 0x21c0
	s_mul_hi_u32 s5, s0, 0x21c0
	v_mov_b32_e32 v1, v6
	buffer_load_dword v6, off, s[24:27], 0 offset:160 ; 4-byte Folded Reload
	buffer_load_dword v7, off, s[24:27], 0 offset:164 ; 4-byte Folded Reload
	v_lshlrev_b64 v[0:1], 3, v[0:1]
	s_add_i32 s4, s5, s4
	s_mul_i32 s5, s0, 0x21c0
	s_mulk_i32 s1, 0xbfe0
	s_add_i32 s1, s6, s1
	s_mulk_i32 s0, 0xbfe0
	s_waitcnt vmcnt(0)
	v_lshlrev_b64 v[6:7], 3, v[6:7]
	v_add_co_u32_e32 v6, vcc, s12, v6
	v_addc_co_u32_e32 v7, vcc, v8, v7, vcc
	v_add_co_u32_e32 v0, vcc, v6, v0
	v_addc_co_u32_e32 v1, vcc, v7, v1, vcc
	global_store_dwordx2 v[0:1], v[4:5], off
	ds_read2_b64 v[4:7], v230 offset0:56 offset1:164
	buffer_load_dword v9, off, s[24:27], 0 offset:224 ; 4-byte Folded Reload
	buffer_load_dword v10, off, s[24:27], 0 offset:228 ; 4-byte Folded Reload
	v_add_co_u32_e32 v0, vcc, s5, v0
	s_waitcnt vmcnt(0) lgkmcnt(0)
	v_mul_f32_e32 v8, v10, v5
	v_mov_b32_e32 v11, v10
	v_fmac_f32_e32 v8, v9, v4
	v_mov_b32_e32 v10, v9
	v_mul_f32_e32 v4, v11, v4
	v_fma_f32 v4, v10, v5, -v4
	v_cvt_f64_f32_e32 v[8:9], v8
	v_cvt_f64_f32_e32 v[4:5], v4
	v_mul_f64 v[8:9], v[8:9], s[2:3]
	v_mul_f64 v[4:5], v[4:5], s[2:3]
	v_cvt_f32_f64_e32 v8, v[8:9]
	v_cvt_f32_f64_e32 v9, v[4:5]
	v_mov_b32_e32 v4, s4
	v_addc_co_u32_e32 v1, vcc, v1, v4, vcc
	global_store_dwordx2 v[0:1], v[8:9], off
	ds_read2_b64 v[8:11], v231 offset0:112 offset1:220
	buffer_load_dword v12, off, s[24:27], 0 offset:208 ; 4-byte Folded Reload
	buffer_load_dword v13, off, s[24:27], 0 offset:212 ; 4-byte Folded Reload
	v_add_co_u32_e32 v0, vcc, s5, v0
	s_waitcnt vmcnt(0) lgkmcnt(0)
	v_mul_f32_e32 v4, v13, v9
	v_fmac_f32_e32 v4, v12, v8
	v_cvt_f64_f32_e32 v[4:5], v4
	v_mul_f64 v[4:5], v[4:5], s[2:3]
	v_cvt_f32_f64_e32 v4, v[4:5]
	v_mul_f32_e32 v5, v13, v8
	v_fma_f32 v5, v12, v9, -v5
	v_cvt_f64_f32_e32 v[8:9], v5
	v_mul_f64 v[8:9], v[8:9], s[2:3]
	v_cvt_f32_f64_e32 v5, v[8:9]
	v_mov_b32_e32 v8, s4
	v_addc_co_u32_e32 v1, vcc, v1, v8, vcc
	global_store_dwordx2 v[0:1], v[4:5], off
	buffer_load_dword v8, off, s[24:27], 0 offset:216 ; 4-byte Folded Reload
	buffer_load_dword v9, off, s[24:27], 0 offset:220 ; 4-byte Folded Reload
	v_add_co_u32_e32 v0, vcc, s0, v0
	s_waitcnt vmcnt(0)
	v_mul_f32_e32 v4, v9, v3
	v_fmac_f32_e32 v4, v8, v2
	v_mul_f32_e32 v2, v9, v2
	v_fma_f32 v2, v8, v3, -v2
	v_cvt_f64_f32_e32 v[4:5], v4
	v_cvt_f64_f32_e32 v[2:3], v2
	v_mul_f64 v[4:5], v[4:5], s[2:3]
	v_mul_f64 v[2:3], v[2:3], s[2:3]
	v_cvt_f32_f64_e32 v4, v[4:5]
	v_cvt_f32_f64_e32 v5, v[2:3]
	v_mov_b32_e32 v2, s1
	v_addc_co_u32_e32 v1, vcc, v1, v2, vcc
	global_store_dwordx2 v[0:1], v[4:5], off
	buffer_load_dword v3, off, s[24:27], 0 offset:192 ; 4-byte Folded Reload
	s_nop 0
	buffer_load_dword v4, off, s[24:27], 0 offset:196 ; 4-byte Folded Reload
	v_add_co_u32_e32 v0, vcc, s5, v0
	s_waitcnt vmcnt(0)
	v_mul_f32_e32 v2, v4, v7
	v_fmac_f32_e32 v2, v3, v6
	v_mov_b32_e32 v5, v4
	v_mov_b32_e32 v4, v3
	v_cvt_f64_f32_e32 v[2:3], v2
	v_mul_f64 v[2:3], v[2:3], s[2:3]
	v_cvt_f32_f64_e32 v2, v[2:3]
	v_mul_f32_e32 v3, v5, v6
	v_fma_f32 v3, v4, v7, -v3
	v_cvt_f64_f32_e32 v[3:4], v3
	v_mul_f64 v[3:4], v[3:4], s[2:3]
	v_cvt_f32_f64_e32 v3, v[3:4]
	v_mov_b32_e32 v4, s4
	v_addc_co_u32_e32 v1, vcc, v1, v4, vcc
	global_store_dwordx2 v[0:1], v[2:3], off
	buffer_load_dword v3, off, s[24:27], 0 offset:152 ; 4-byte Folded Reload
	s_nop 0
	buffer_load_dword v4, off, s[24:27], 0 offset:156 ; 4-byte Folded Reload
	s_waitcnt vmcnt(0)
	v_mul_f32_e32 v2, v4, v11
	v_fmac_f32_e32 v2, v3, v10
	v_mov_b32_e32 v5, v4
	v_mov_b32_e32 v4, v3
	v_cvt_f64_f32_e32 v[2:3], v2
	v_mul_f64 v[2:3], v[2:3], s[2:3]
	v_cvt_f32_f64_e32 v2, v[2:3]
	v_mul_f32_e32 v3, v5, v10
	v_fma_f32 v3, v4, v11, -v3
	v_cvt_f64_f32_e32 v[3:4], v3
	v_mul_f64 v[3:4], v[3:4], s[2:3]
	v_cvt_f32_f64_e32 v3, v[3:4]
	v_add_co_u32_e32 v4, vcc, s5, v0
	v_mov_b32_e32 v0, s4
	v_addc_co_u32_e32 v5, vcc, v1, v0, vcc
	global_store_dwordx2 v[4:5], v[2:3], off
	ds_read2_b64 v[0:3], v188 offset0:88 offset1:196
	buffer_load_dword v7, off, s[24:27], 0 offset:184 ; 4-byte Folded Reload
	buffer_load_dword v8, off, s[24:27], 0 offset:188 ; 4-byte Folded Reload
	s_waitcnt vmcnt(0) lgkmcnt(0)
	v_mul_f32_e32 v6, v8, v1
	v_mov_b32_e32 v9, v8
	v_fmac_f32_e32 v6, v7, v0
	v_mov_b32_e32 v8, v7
	v_mul_f32_e32 v0, v9, v0
	v_fma_f32 v0, v8, v1, -v0
	v_cvt_f64_f32_e32 v[6:7], v6
	v_cvt_f64_f32_e32 v[0:1], v0
	v_mul_f64 v[6:7], v[6:7], s[2:3]
	v_mul_f64 v[0:1], v[0:1], s[2:3]
	v_cvt_f32_f64_e32 v6, v[6:7]
	v_cvt_f32_f64_e32 v7, v[0:1]
	v_add_co_u32_e32 v0, vcc, s0, v4
	v_mov_b32_e32 v1, s1
	v_addc_co_u32_e32 v1, vcc, v5, v1, vcc
	global_store_dwordx2 v[0:1], v[6:7], off
	ds_read2_b64 v[4:7], v189 offset0:16 offset1:124
	buffer_load_dword v9, off, s[24:27], 0 offset:200 ; 4-byte Folded Reload
	buffer_load_dword v10, off, s[24:27], 0 offset:204 ; 4-byte Folded Reload
	v_add_co_u32_e32 v0, vcc, s5, v0
	s_waitcnt vmcnt(0) lgkmcnt(0)
	v_mul_f32_e32 v8, v10, v5
	v_mov_b32_e32 v11, v10
	v_fmac_f32_e32 v8, v9, v4
	v_mov_b32_e32 v10, v9
	v_mul_f32_e32 v4, v11, v4
	v_fma_f32 v4, v10, v5, -v4
	v_cvt_f64_f32_e32 v[8:9], v8
	v_cvt_f64_f32_e32 v[4:5], v4
	v_mul_f64 v[8:9], v[8:9], s[2:3]
	v_mul_f64 v[4:5], v[4:5], s[2:3]
	v_cvt_f32_f64_e32 v8, v[8:9]
	v_cvt_f32_f64_e32 v9, v[4:5]
	v_mov_b32_e32 v4, s4
	v_addc_co_u32_e32 v1, vcc, v1, v4, vcc
	global_store_dwordx2 v[0:1], v[8:9], off
	ds_read2_b64 v[8:11], v225 offset0:72 offset1:180
	buffer_load_dword v12, off, s[24:27], 0 offset:144 ; 4-byte Folded Reload
	buffer_load_dword v13, off, s[24:27], 0 offset:148 ; 4-byte Folded Reload
	v_add_co_u32_e32 v0, vcc, s5, v0
	s_waitcnt vmcnt(0) lgkmcnt(0)
	v_mul_f32_e32 v4, v13, v9
	v_fmac_f32_e32 v4, v12, v8
	v_cvt_f64_f32_e32 v[4:5], v4
	v_mul_f64 v[4:5], v[4:5], s[2:3]
	v_cvt_f32_f64_e32 v4, v[4:5]
	v_mul_f32_e32 v5, v13, v8
	v_fma_f32 v5, v12, v9, -v5
	v_cvt_f64_f32_e32 v[8:9], v5
	v_mul_f64 v[8:9], v[8:9], s[2:3]
	v_cvt_f32_f64_e32 v5, v[8:9]
	v_mov_b32_e32 v8, s4
	v_addc_co_u32_e32 v1, vcc, v1, v8, vcc
	global_store_dwordx2 v[0:1], v[4:5], off
	buffer_load_dword v8, off, s[24:27], 0 offset:176 ; 4-byte Folded Reload
	buffer_load_dword v9, off, s[24:27], 0 offset:180 ; 4-byte Folded Reload
	v_add_co_u32_e32 v0, vcc, s0, v0
	s_waitcnt vmcnt(0)
	v_mul_f32_e32 v4, v9, v3
	v_fmac_f32_e32 v4, v8, v2
	v_mul_f32_e32 v2, v9, v2
	v_fma_f32 v2, v8, v3, -v2
	v_cvt_f64_f32_e32 v[4:5], v4
	v_cvt_f64_f32_e32 v[2:3], v2
	v_mul_f64 v[4:5], v[4:5], s[2:3]
	v_mul_f64 v[2:3], v[2:3], s[2:3]
	v_cvt_f32_f64_e32 v4, v[4:5]
	v_cvt_f32_f64_e32 v5, v[2:3]
	v_mov_b32_e32 v2, s1
	v_addc_co_u32_e32 v1, vcc, v1, v2, vcc
	global_store_dwordx2 v[0:1], v[4:5], off
	buffer_load_dword v3, off, s[24:27], 0 offset:168 ; 4-byte Folded Reload
	s_nop 0
	buffer_load_dword v4, off, s[24:27], 0 offset:172 ; 4-byte Folded Reload
	v_add_co_u32_e32 v0, vcc, s5, v0
	s_waitcnt vmcnt(0)
	v_mul_f32_e32 v2, v4, v7
	v_fmac_f32_e32 v2, v3, v6
	v_mov_b32_e32 v5, v4
	v_mov_b32_e32 v4, v3
	v_cvt_f64_f32_e32 v[2:3], v2
	v_mul_f64 v[2:3], v[2:3], s[2:3]
	v_cvt_f32_f64_e32 v2, v[2:3]
	v_mul_f32_e32 v3, v5, v6
	v_fma_f32 v3, v4, v7, -v3
	v_cvt_f64_f32_e32 v[3:4], v3
	v_mul_f64 v[3:4], v[3:4], s[2:3]
	v_cvt_f32_f64_e32 v3, v[3:4]
	v_mov_b32_e32 v4, s4
	v_addc_co_u32_e32 v1, vcc, v1, v4, vcc
	global_store_dwordx2 v[0:1], v[2:3], off
	buffer_load_dword v3, off, s[24:27], 0 offset:136 ; 4-byte Folded Reload
	s_nop 0
	buffer_load_dword v4, off, s[24:27], 0 offset:140 ; 4-byte Folded Reload
	s_waitcnt vmcnt(0)
	v_mul_f32_e32 v2, v4, v11
	v_fmac_f32_e32 v2, v3, v10
	v_mov_b32_e32 v5, v4
	v_mov_b32_e32 v4, v3
	v_cvt_f64_f32_e32 v[2:3], v2
	v_mul_f64 v[2:3], v[2:3], s[2:3]
	v_cvt_f32_f64_e32 v2, v[2:3]
	v_mul_f32_e32 v3, v5, v10
	v_fma_f32 v3, v4, v11, -v3
	v_cvt_f64_f32_e32 v[3:4], v3
	v_mul_f64 v[3:4], v[3:4], s[2:3]
	v_cvt_f32_f64_e32 v3, v[3:4]
	v_add_co_u32_e32 v4, vcc, s5, v0
	v_mov_b32_e32 v0, s4
	v_addc_co_u32_e32 v5, vcc, v1, v0, vcc
	global_store_dwordx2 v[4:5], v[2:3], off
	ds_read2_b64 v[0:3], v203 offset0:48 offset1:156
	buffer_load_dword v7, off, s[24:27], 0 offset:128 ; 4-byte Folded Reload
	buffer_load_dword v8, off, s[24:27], 0 offset:132 ; 4-byte Folded Reload
	s_waitcnt vmcnt(0) lgkmcnt(0)
	v_mul_f32_e32 v6, v8, v1
	v_mov_b32_e32 v9, v8
	v_fmac_f32_e32 v6, v7, v0
	v_mov_b32_e32 v8, v7
	v_mul_f32_e32 v0, v9, v0
	v_fma_f32 v0, v8, v1, -v0
	v_cvt_f64_f32_e32 v[6:7], v6
	v_cvt_f64_f32_e32 v[0:1], v0
	v_mul_f64 v[6:7], v[6:7], s[2:3]
	v_mul_f64 v[0:1], v[0:1], s[2:3]
	v_cvt_f32_f64_e32 v6, v[6:7]
	v_cvt_f32_f64_e32 v7, v[0:1]
	v_add_co_u32_e32 v0, vcc, s0, v4
	v_mov_b32_e32 v1, s1
	v_addc_co_u32_e32 v1, vcc, v5, v1, vcc
	global_store_dwordx2 v[0:1], v[6:7], off
	ds_read2_b64 v[4:7], v93 offset0:104 offset1:212
	buffer_load_dword v9, off, s[24:27], 0 offset:112 ; 4-byte Folded Reload
	buffer_load_dword v10, off, s[24:27], 0 offset:116 ; 4-byte Folded Reload
	v_add_co_u32_e32 v0, vcc, s5, v0
	s_waitcnt vmcnt(0) lgkmcnt(0)
	v_mul_f32_e32 v8, v10, v5
	v_mov_b32_e32 v11, v10
	v_fmac_f32_e32 v8, v9, v4
	v_mov_b32_e32 v10, v9
	v_mul_f32_e32 v4, v11, v4
	v_fma_f32 v4, v10, v5, -v4
	v_cvt_f64_f32_e32 v[8:9], v8
	v_cvt_f64_f32_e32 v[4:5], v4
	v_mul_f64 v[8:9], v[8:9], s[2:3]
	v_mul_f64 v[4:5], v[4:5], s[2:3]
	v_cvt_f32_f64_e32 v8, v[8:9]
	v_cvt_f32_f64_e32 v9, v[4:5]
	v_mov_b32_e32 v4, s4
	v_addc_co_u32_e32 v1, vcc, v1, v4, vcc
	global_store_dwordx2 v[0:1], v[8:9], off
	ds_read2_b64 v[8:11], v224 offset0:32 offset1:140
	buffer_load_dword v12, off, s[24:27], 0 offset:96 ; 4-byte Folded Reload
	buffer_load_dword v13, off, s[24:27], 0 offset:100 ; 4-byte Folded Reload
	v_add_co_u32_e32 v0, vcc, s5, v0
	s_waitcnt vmcnt(0) lgkmcnt(0)
	v_mul_f32_e32 v4, v13, v9
	v_fmac_f32_e32 v4, v12, v8
	v_cvt_f64_f32_e32 v[4:5], v4
	v_mul_f64 v[4:5], v[4:5], s[2:3]
	v_cvt_f32_f64_e32 v4, v[4:5]
	v_mul_f32_e32 v5, v13, v8
	v_fma_f32 v5, v12, v9, -v5
	v_cvt_f64_f32_e32 v[8:9], v5
	v_mul_f64 v[8:9], v[8:9], s[2:3]
	v_cvt_f32_f64_e32 v5, v[8:9]
	v_mov_b32_e32 v8, s4
	v_addc_co_u32_e32 v1, vcc, v1, v8, vcc
	global_store_dwordx2 v[0:1], v[4:5], off
	buffer_load_dword v8, off, s[24:27], 0 offset:120 ; 4-byte Folded Reload
	buffer_load_dword v9, off, s[24:27], 0 offset:124 ; 4-byte Folded Reload
	v_add_co_u32_e32 v0, vcc, s0, v0
	s_waitcnt vmcnt(0)
	v_mul_f32_e32 v4, v9, v3
	v_fmac_f32_e32 v4, v8, v2
	v_mul_f32_e32 v2, v9, v2
	v_fma_f32 v2, v8, v3, -v2
	v_cvt_f64_f32_e32 v[4:5], v4
	v_cvt_f64_f32_e32 v[2:3], v2
	v_mul_f64 v[4:5], v[4:5], s[2:3]
	v_mul_f64 v[2:3], v[2:3], s[2:3]
	v_cvt_f32_f64_e32 v4, v[4:5]
	v_cvt_f32_f64_e32 v5, v[2:3]
	v_mov_b32_e32 v2, s1
	v_addc_co_u32_e32 v1, vcc, v1, v2, vcc
	global_store_dwordx2 v[0:1], v[4:5], off
	buffer_load_dword v3, off, s[24:27], 0 offset:104 ; 4-byte Folded Reload
	s_nop 0
	buffer_load_dword v4, off, s[24:27], 0 offset:108 ; 4-byte Folded Reload
	v_add_co_u32_e32 v0, vcc, s5, v0
	s_waitcnt vmcnt(0)
	v_mul_f32_e32 v2, v4, v7
	v_fmac_f32_e32 v2, v3, v6
	v_mov_b32_e32 v5, v4
	v_mov_b32_e32 v4, v3
	v_cvt_f64_f32_e32 v[2:3], v2
	v_mul_f64 v[2:3], v[2:3], s[2:3]
	v_cvt_f32_f64_e32 v2, v[2:3]
	v_mul_f32_e32 v3, v5, v6
	v_fma_f32 v3, v4, v7, -v3
	v_cvt_f64_f32_e32 v[3:4], v3
	v_mul_f64 v[3:4], v[3:4], s[2:3]
	v_cvt_f32_f64_e32 v3, v[3:4]
	v_mov_b32_e32 v4, s4
	v_addc_co_u32_e32 v1, vcc, v1, v4, vcc
	global_store_dwordx2 v[0:1], v[2:3], off
	buffer_load_dword v3, off, s[24:27], 0 offset:88 ; 4-byte Folded Reload
	s_nop 0
	buffer_load_dword v4, off, s[24:27], 0 offset:92 ; 4-byte Folded Reload
	s_waitcnt vmcnt(0)
	v_mul_f32_e32 v2, v4, v11
	v_fmac_f32_e32 v2, v3, v10
	v_mov_b32_e32 v5, v4
	v_mov_b32_e32 v4, v3
	v_cvt_f64_f32_e32 v[2:3], v2
	v_mul_f64 v[2:3], v[2:3], s[2:3]
	v_cvt_f32_f64_e32 v2, v[2:3]
	v_mul_f32_e32 v3, v5, v10
	v_fma_f32 v3, v4, v11, -v3
	v_cvt_f64_f32_e32 v[3:4], v3
	v_mul_f64 v[3:4], v[3:4], s[2:3]
	v_cvt_f32_f64_e32 v3, v[3:4]
	v_add_co_u32_e32 v4, vcc, s5, v0
	v_mov_b32_e32 v0, s4
	v_addc_co_u32_e32 v5, vcc, v1, v0, vcc
	global_store_dwordx2 v[4:5], v[2:3], off
	ds_read2_b64 v[0:3], v194 offset0:136 offset1:244
	buffer_load_dword v7, off, s[24:27], 0 offset:80 ; 4-byte Folded Reload
	buffer_load_dword v8, off, s[24:27], 0 offset:84 ; 4-byte Folded Reload
	s_waitcnt vmcnt(0) lgkmcnt(0)
	v_mul_f32_e32 v6, v8, v1
	v_mov_b32_e32 v9, v8
	v_fmac_f32_e32 v6, v7, v0
	v_mov_b32_e32 v8, v7
	v_mul_f32_e32 v0, v9, v0
	v_fma_f32 v0, v8, v1, -v0
	v_cvt_f64_f32_e32 v[6:7], v6
	v_cvt_f64_f32_e32 v[0:1], v0
	v_mul_f64 v[6:7], v[6:7], s[2:3]
	v_mul_f64 v[0:1], v[0:1], s[2:3]
	v_cvt_f32_f64_e32 v6, v[6:7]
	v_cvt_f32_f64_e32 v7, v[0:1]
	v_add_co_u32_e32 v0, vcc, s0, v4
	v_mov_b32_e32 v1, s1
	v_addc_co_u32_e32 v1, vcc, v5, v1, vcc
	global_store_dwordx2 v[0:1], v[6:7], off
	ds_read2_b64 v[4:7], v201 offset0:64 offset1:172
	buffer_load_dword v9, off, s[24:27], 0 offset:64 ; 4-byte Folded Reload
	buffer_load_dword v10, off, s[24:27], 0 offset:68 ; 4-byte Folded Reload
	v_add_co_u32_e32 v0, vcc, s5, v0
	s_waitcnt vmcnt(0) lgkmcnt(0)
	v_mul_f32_e32 v8, v10, v5
	v_mov_b32_e32 v11, v10
	v_fmac_f32_e32 v8, v9, v4
	v_mov_b32_e32 v10, v9
	v_mul_f32_e32 v4, v11, v4
	v_fma_f32 v4, v10, v5, -v4
	v_cvt_f64_f32_e32 v[8:9], v8
	v_cvt_f64_f32_e32 v[4:5], v4
	v_mul_f64 v[8:9], v[8:9], s[2:3]
	v_mul_f64 v[4:5], v[4:5], s[2:3]
	v_cvt_f32_f64_e32 v8, v[8:9]
	v_cvt_f32_f64_e32 v9, v[4:5]
	v_mov_b32_e32 v4, s4
	v_addc_co_u32_e32 v1, vcc, v1, v4, vcc
	global_store_dwordx2 v[0:1], v[8:9], off
	ds_read2_b64 v[8:11], v101 offset0:120 offset1:228
	buffer_load_dword v12, off, s[24:27], 0 offset:56 ; 4-byte Folded Reload
	buffer_load_dword v13, off, s[24:27], 0 offset:60 ; 4-byte Folded Reload
	v_add_co_u32_e32 v0, vcc, s5, v0
	s_waitcnt vmcnt(0) lgkmcnt(0)
	v_mul_f32_e32 v4, v13, v9
	v_fmac_f32_e32 v4, v12, v8
	v_cvt_f64_f32_e32 v[4:5], v4
	v_mul_f64 v[4:5], v[4:5], s[2:3]
	v_cvt_f32_f64_e32 v4, v[4:5]
	v_mul_f32_e32 v5, v13, v8
	v_fma_f32 v5, v12, v9, -v5
	v_cvt_f64_f32_e32 v[8:9], v5
	v_mul_f64 v[8:9], v[8:9], s[2:3]
	v_cvt_f32_f64_e32 v5, v[8:9]
	v_mov_b32_e32 v8, s4
	v_addc_co_u32_e32 v1, vcc, v1, v8, vcc
	global_store_dwordx2 v[0:1], v[4:5], off
	buffer_load_dword v8, off, s[24:27], 0 offset:48 ; 4-byte Folded Reload
	buffer_load_dword v9, off, s[24:27], 0 offset:52 ; 4-byte Folded Reload
	v_add_co_u32_e32 v0, vcc, s0, v0
	s_waitcnt vmcnt(0)
	v_mul_f32_e32 v4, v9, v3
	v_fmac_f32_e32 v4, v8, v2
	v_mul_f32_e32 v2, v9, v2
	v_fma_f32 v2, v8, v3, -v2
	v_cvt_f64_f32_e32 v[4:5], v4
	v_cvt_f64_f32_e32 v[2:3], v2
	v_mul_f64 v[4:5], v[4:5], s[2:3]
	v_mul_f64 v[2:3], v[2:3], s[2:3]
	v_cvt_f32_f64_e32 v4, v[4:5]
	v_cvt_f32_f64_e32 v5, v[2:3]
	v_mov_b32_e32 v2, s1
	v_addc_co_u32_e32 v1, vcc, v1, v2, vcc
	global_store_dwordx2 v[0:1], v[4:5], off
	buffer_load_dword v3, off, s[24:27], 0 offset:40 ; 4-byte Folded Reload
	s_nop 0
	buffer_load_dword v4, off, s[24:27], 0 offset:44 ; 4-byte Folded Reload
	v_add_co_u32_e32 v0, vcc, s5, v0
	s_waitcnt vmcnt(0)
	v_mul_f32_e32 v2, v4, v7
	v_fmac_f32_e32 v2, v3, v6
	v_mov_b32_e32 v5, v4
	v_mov_b32_e32 v4, v3
	v_cvt_f64_f32_e32 v[2:3], v2
	v_mul_f64 v[2:3], v[2:3], s[2:3]
	v_cvt_f32_f64_e32 v2, v[2:3]
	v_mul_f32_e32 v3, v5, v6
	v_fma_f32 v3, v4, v7, -v3
	v_cvt_f64_f32_e32 v[3:4], v3
	v_mul_f64 v[3:4], v[3:4], s[2:3]
	v_cvt_f32_f64_e32 v3, v[3:4]
	v_mov_b32_e32 v4, s4
	v_addc_co_u32_e32 v1, vcc, v1, v4, vcc
	global_store_dwordx2 v[0:1], v[2:3], off
	buffer_load_dword v3, off, s[24:27], 0 offset:32 ; 4-byte Folded Reload
	s_nop 0
	buffer_load_dword v4, off, s[24:27], 0 offset:36 ; 4-byte Folded Reload
	s_waitcnt vmcnt(0)
	v_mul_f32_e32 v2, v4, v11
	v_fmac_f32_e32 v2, v3, v10
	v_mov_b32_e32 v5, v4
	v_mov_b32_e32 v4, v3
	v_cvt_f64_f32_e32 v[2:3], v2
	v_mul_f64 v[2:3], v[2:3], s[2:3]
	v_cvt_f32_f64_e32 v2, v[2:3]
	v_mul_f32_e32 v3, v5, v10
	v_fma_f32 v3, v4, v11, -v3
	v_cvt_f64_f32_e32 v[3:4], v3
	v_mul_f64 v[3:4], v[3:4], s[2:3]
	v_cvt_f32_f64_e32 v3, v[3:4]
	v_add_co_u32_e32 v4, vcc, s5, v0
	v_mov_b32_e32 v0, s4
	v_addc_co_u32_e32 v5, vcc, v1, v0, vcc
	global_store_dwordx2 v[4:5], v[2:3], off
	ds_read2_b64 v[0:3], v103 offset0:96 offset1:204
	buffer_load_dword v7, off, s[24:27], 0 offset:24 ; 4-byte Folded Reload
	buffer_load_dword v8, off, s[24:27], 0 offset:28 ; 4-byte Folded Reload
	s_waitcnt vmcnt(0) lgkmcnt(0)
	v_mul_f32_e32 v6, v8, v1
	v_mov_b32_e32 v9, v8
	v_fmac_f32_e32 v6, v7, v0
	v_mov_b32_e32 v8, v7
	v_mul_f32_e32 v0, v9, v0
	v_fma_f32 v0, v8, v1, -v0
	v_cvt_f64_f32_e32 v[6:7], v6
	v_cvt_f64_f32_e32 v[0:1], v0
	v_mul_f64 v[6:7], v[6:7], s[2:3]
	v_mul_f64 v[0:1], v[0:1], s[2:3]
	v_cvt_f32_f64_e32 v6, v[6:7]
	v_cvt_f32_f64_e32 v7, v[0:1]
	v_add_co_u32_e32 v0, vcc, s0, v4
	v_mov_b32_e32 v1, s1
	v_addc_co_u32_e32 v1, vcc, v5, v1, vcc
	global_store_dwordx2 v[0:1], v[6:7], off
	ds_read2_b64 v[4:7], v96 offset0:24 offset1:132
	buffer_load_dword v9, off, s[24:27], 0 offset:16 ; 4-byte Folded Reload
	buffer_load_dword v10, off, s[24:27], 0 offset:20 ; 4-byte Folded Reload
	v_add_co_u32_e32 v0, vcc, s5, v0
	s_waitcnt vmcnt(0) lgkmcnt(0)
	v_mul_f32_e32 v8, v10, v5
	v_mov_b32_e32 v11, v10
	v_fmac_f32_e32 v8, v9, v4
	v_mov_b32_e32 v10, v9
	v_mul_f32_e32 v4, v11, v4
	v_fma_f32 v4, v10, v5, -v4
	v_cvt_f64_f32_e32 v[8:9], v8
	v_cvt_f64_f32_e32 v[4:5], v4
	v_mul_f64 v[8:9], v[8:9], s[2:3]
	v_mul_f64 v[4:5], v[4:5], s[2:3]
	v_cvt_f32_f64_e32 v8, v[8:9]
	v_cvt_f32_f64_e32 v9, v[4:5]
	v_mov_b32_e32 v4, s4
	v_addc_co_u32_e32 v1, vcc, v1, v4, vcc
	global_store_dwordx2 v[0:1], v[8:9], off
	ds_read2_b64 v[8:11], v202 offset0:80 offset1:188
	buffer_load_dword v12, off, s[24:27], 0 offset:8 ; 4-byte Folded Reload
	buffer_load_dword v13, off, s[24:27], 0 offset:12 ; 4-byte Folded Reload
	v_add_co_u32_e32 v0, vcc, s5, v0
	s_waitcnt vmcnt(0) lgkmcnt(0)
	v_mul_f32_e32 v4, v13, v9
	v_fmac_f32_e32 v4, v12, v8
	v_cvt_f64_f32_e32 v[4:5], v4
	v_mul_f64 v[4:5], v[4:5], s[2:3]
	v_cvt_f32_f64_e32 v4, v[4:5]
	v_mul_f32_e32 v5, v13, v8
	v_fma_f32 v5, v12, v9, -v5
	v_cvt_f64_f32_e32 v[8:9], v5
	v_mul_f64 v[8:9], v[8:9], s[2:3]
	v_cvt_f32_f64_e32 v5, v[8:9]
	v_mov_b32_e32 v8, s4
	v_addc_co_u32_e32 v1, vcc, v1, v8, vcc
	global_store_dwordx2 v[0:1], v[4:5], off
	buffer_load_dword v8, off, s[24:27], 0  ; 4-byte Folded Reload
	buffer_load_dword v9, off, s[24:27], 0 offset:4 ; 4-byte Folded Reload
	v_add_co_u32_e32 v0, vcc, s0, v0
	s_waitcnt vmcnt(0)
	v_mul_f32_e32 v4, v9, v3
	v_fmac_f32_e32 v4, v8, v2
	v_mul_f32_e32 v2, v9, v2
	v_fma_f32 v2, v8, v3, -v2
	v_cvt_f64_f32_e32 v[4:5], v4
	v_cvt_f64_f32_e32 v[2:3], v2
	v_mul_f64 v[4:5], v[4:5], s[2:3]
	v_mul_f64 v[2:3], v[2:3], s[2:3]
	v_cvt_f32_f64_e32 v4, v[4:5]
	v_cvt_f32_f64_e32 v5, v[2:3]
	v_mov_b32_e32 v2, s1
	v_addc_co_u32_e32 v1, vcc, v1, v2, vcc
	global_store_dwordx2 v[0:1], v[4:5], off
	buffer_load_dword v3, off, s[24:27], 0 offset:72 ; 4-byte Folded Reload
	s_nop 0
	buffer_load_dword v4, off, s[24:27], 0 offset:76 ; 4-byte Folded Reload
	v_add_co_u32_e32 v0, vcc, s5, v0
	s_waitcnt vmcnt(0)
	v_mul_f32_e32 v2, v4, v7
	v_fmac_f32_e32 v2, v3, v6
	v_mov_b32_e32 v5, v4
	v_mov_b32_e32 v4, v3
	v_cvt_f64_f32_e32 v[2:3], v2
	v_mul_f64 v[2:3], v[2:3], s[2:3]
	v_cvt_f32_f64_e32 v2, v[2:3]
	v_mul_f32_e32 v3, v5, v6
	v_fma_f32 v3, v4, v7, -v3
	v_cvt_f64_f32_e32 v[3:4], v3
	v_mul_f64 v[3:4], v[3:4], s[2:3]
	v_cvt_f32_f64_e32 v3, v[3:4]
	v_mov_b32_e32 v4, s4
	v_addc_co_u32_e32 v1, vcc, v1, v4, vcc
	global_store_dwordx2 v[0:1], v[2:3], off
	buffer_load_dword v3, off, s[24:27], 0 offset:240 ; 4-byte Folded Reload
	s_nop 0
	buffer_load_dword v4, off, s[24:27], 0 offset:244 ; 4-byte Folded Reload
	v_add_co_u32_e32 v0, vcc, s5, v0
	s_waitcnt vmcnt(0)
	v_mul_f32_e32 v2, v4, v11
	v_fmac_f32_e32 v2, v3, v10
	v_mov_b32_e32 v5, v4
	v_mov_b32_e32 v4, v3
	v_cvt_f64_f32_e32 v[2:3], v2
	v_mul_f64 v[2:3], v[2:3], s[2:3]
	v_cvt_f32_f64_e32 v2, v[2:3]
	v_mul_f32_e32 v3, v5, v10
	v_fma_f32 v3, v4, v11, -v3
	v_cvt_f64_f32_e32 v[3:4], v3
	v_mul_f64 v[3:4], v[3:4], s[2:3]
	v_cvt_f32_f64_e32 v3, v[3:4]
	v_mov_b32_e32 v4, s4
	v_addc_co_u32_e32 v1, vcc, v1, v4, vcc
	global_store_dwordx2 v[0:1], v[2:3], off
.LBB0_2:
	s_endpgm
	.section	.rodata,"a",@progbits
	.p2align	6, 0x0
	.amdhsa_kernel bluestein_single_fwd_len3240_dim1_sp_op_CI_CI
		.amdhsa_group_segment_fixed_size 25920
		.amdhsa_private_segment_fixed_size 520
		.amdhsa_kernarg_size 104
		.amdhsa_user_sgpr_count 6
		.amdhsa_user_sgpr_private_segment_buffer 1
		.amdhsa_user_sgpr_dispatch_ptr 0
		.amdhsa_user_sgpr_queue_ptr 0
		.amdhsa_user_sgpr_kernarg_segment_ptr 1
		.amdhsa_user_sgpr_dispatch_id 0
		.amdhsa_user_sgpr_flat_scratch_init 0
		.amdhsa_user_sgpr_private_segment_size 0
		.amdhsa_uses_dynamic_stack 0
		.amdhsa_system_sgpr_private_segment_wavefront_offset 1
		.amdhsa_system_sgpr_workgroup_id_x 1
		.amdhsa_system_sgpr_workgroup_id_y 0
		.amdhsa_system_sgpr_workgroup_id_z 0
		.amdhsa_system_sgpr_workgroup_info 0
		.amdhsa_system_vgpr_workitem_id 0
		.amdhsa_next_free_vgpr 256
		.amdhsa_next_free_sgpr 28
		.amdhsa_reserve_vcc 1
		.amdhsa_reserve_flat_scratch 0
		.amdhsa_float_round_mode_32 0
		.amdhsa_float_round_mode_16_64 0
		.amdhsa_float_denorm_mode_32 3
		.amdhsa_float_denorm_mode_16_64 3
		.amdhsa_dx10_clamp 1
		.amdhsa_ieee_mode 1
		.amdhsa_fp16_overflow 0
		.amdhsa_exception_fp_ieee_invalid_op 0
		.amdhsa_exception_fp_denorm_src 0
		.amdhsa_exception_fp_ieee_div_zero 0
		.amdhsa_exception_fp_ieee_overflow 0
		.amdhsa_exception_fp_ieee_underflow 0
		.amdhsa_exception_fp_ieee_inexact 0
		.amdhsa_exception_int_div_zero 0
	.end_amdhsa_kernel
	.text
.Lfunc_end0:
	.size	bluestein_single_fwd_len3240_dim1_sp_op_CI_CI, .Lfunc_end0-bluestein_single_fwd_len3240_dim1_sp_op_CI_CI
                                        ; -- End function
	.section	.AMDGPU.csdata,"",@progbits
; Kernel info:
; codeLenInByte = 32052
; NumSgprs: 32
; NumVgprs: 256
; ScratchSize: 520
; MemoryBound: 0
; FloatMode: 240
; IeeeMode: 1
; LDSByteSize: 25920 bytes/workgroup (compile time only)
; SGPRBlocks: 3
; VGPRBlocks: 63
; NumSGPRsForWavesPerEU: 32
; NumVGPRsForWavesPerEU: 256
; Occupancy: 1
; WaveLimiterHint : 1
; COMPUTE_PGM_RSRC2:SCRATCH_EN: 1
; COMPUTE_PGM_RSRC2:USER_SGPR: 6
; COMPUTE_PGM_RSRC2:TRAP_HANDLER: 0
; COMPUTE_PGM_RSRC2:TGID_X_EN: 1
; COMPUTE_PGM_RSRC2:TGID_Y_EN: 0
; COMPUTE_PGM_RSRC2:TGID_Z_EN: 0
; COMPUTE_PGM_RSRC2:TIDIG_COMP_CNT: 0
	.type	__hip_cuid_a15251c109b083bd,@object ; @__hip_cuid_a15251c109b083bd
	.section	.bss,"aw",@nobits
	.globl	__hip_cuid_a15251c109b083bd
__hip_cuid_a15251c109b083bd:
	.byte	0                               ; 0x0
	.size	__hip_cuid_a15251c109b083bd, 1

	.ident	"AMD clang version 19.0.0git (https://github.com/RadeonOpenCompute/llvm-project roc-6.4.0 25133 c7fe45cf4b819c5991fe208aaa96edf142730f1d)"
	.section	".note.GNU-stack","",@progbits
	.addrsig
	.addrsig_sym __hip_cuid_a15251c109b083bd
	.amdgpu_metadata
---
amdhsa.kernels:
  - .args:
      - .actual_access:  read_only
        .address_space:  global
        .offset:         0
        .size:           8
        .value_kind:     global_buffer
      - .actual_access:  read_only
        .address_space:  global
        .offset:         8
        .size:           8
        .value_kind:     global_buffer
      - .actual_access:  read_only
        .address_space:  global
        .offset:         16
        .size:           8
        .value_kind:     global_buffer
      - .actual_access:  read_only
        .address_space:  global
        .offset:         24
        .size:           8
        .value_kind:     global_buffer
      - .actual_access:  read_only
        .address_space:  global
        .offset:         32
        .size:           8
        .value_kind:     global_buffer
      - .offset:         40
        .size:           8
        .value_kind:     by_value
      - .address_space:  global
        .offset:         48
        .size:           8
        .value_kind:     global_buffer
      - .address_space:  global
        .offset:         56
        .size:           8
        .value_kind:     global_buffer
      - .address_space:  global
        .offset:         64
        .size:           8
        .value_kind:     global_buffer
      - .address_space:  global
        .offset:         72
        .size:           8
        .value_kind:     global_buffer
      - .offset:         80
        .size:           4
        .value_kind:     by_value
      - .address_space:  global
        .offset:         88
        .size:           8
        .value_kind:     global_buffer
      - .address_space:  global
        .offset:         96
        .size:           8
        .value_kind:     global_buffer
    .group_segment_fixed_size: 25920
    .kernarg_segment_align: 8
    .kernarg_segment_size: 104
    .language:       OpenCL C
    .language_version:
      - 2
      - 0
    .max_flat_workgroup_size: 108
    .name:           bluestein_single_fwd_len3240_dim1_sp_op_CI_CI
    .private_segment_fixed_size: 520
    .sgpr_count:     32
    .sgpr_spill_count: 0
    .symbol:         bluestein_single_fwd_len3240_dim1_sp_op_CI_CI.kd
    .uniform_work_group_size: 1
    .uses_dynamic_stack: false
    .vgpr_count:     256
    .vgpr_spill_count: 129
    .wavefront_size: 64
amdhsa.target:   amdgcn-amd-amdhsa--gfx906
amdhsa.version:
  - 1
  - 2
...

	.end_amdgpu_metadata
